;; amdgpu-corpus repo=ROCm/rocFFT kind=compiled arch=gfx1030 opt=O3
	.text
	.amdgcn_target "amdgcn-amd-amdhsa--gfx1030"
	.amdhsa_code_object_version 6
	.protected	fft_rtc_fwd_len408_factors_17_3_8_wgs_51_tpt_17_halfLds_half_op_CI_CI_unitstride_sbrr_C2R_dirReg ; -- Begin function fft_rtc_fwd_len408_factors_17_3_8_wgs_51_tpt_17_halfLds_half_op_CI_CI_unitstride_sbrr_C2R_dirReg
	.globl	fft_rtc_fwd_len408_factors_17_3_8_wgs_51_tpt_17_halfLds_half_op_CI_CI_unitstride_sbrr_C2R_dirReg
	.p2align	8
	.type	fft_rtc_fwd_len408_factors_17_3_8_wgs_51_tpt_17_halfLds_half_op_CI_CI_unitstride_sbrr_C2R_dirReg,@function
fft_rtc_fwd_len408_factors_17_3_8_wgs_51_tpt_17_halfLds_half_op_CI_CI_unitstride_sbrr_C2R_dirReg: ; @fft_rtc_fwd_len408_factors_17_3_8_wgs_51_tpt_17_halfLds_half_op_CI_CI_unitstride_sbrr_C2R_dirReg
; %bb.0:
	s_load_dwordx4 s[12:15], s[4:5], 0x0
	v_mul_u32_u24_e32 v1, 0xf10, v0
	s_clause 0x1
	s_load_dwordx4 s[8:11], s[4:5], 0x58
	s_load_dwordx4 s[16:19], s[4:5], 0x18
	v_mov_b32_e32 v9, 0
	v_mov_b32_e32 v7, 0
	;; [unrolled: 1-line block ×3, first 2 shown]
	v_lshrrev_b32_e32 v1, 16, v1
	v_mad_u64_u32 v[3:4], null, s6, 3, v[1:2]
	v_mov_b32_e32 v4, v9
	v_mov_b32_e32 v1, v7
	;; [unrolled: 1-line block ×5, first 2 shown]
	s_waitcnt lgkmcnt(0)
	v_cmp_lt_u64_e64 s0, s[14:15], 2
	s_and_b32 vcc_lo, exec_lo, s0
	s_cbranch_vccnz .LBB0_8
; %bb.1:
	s_load_dwordx2 s[0:1], s[4:5], 0x10
	v_mov_b32_e32 v7, 0
	v_mov_b32_e32 v8, 0
	s_add_u32 s2, s18, 8
	v_mov_b32_e32 v12, v4
	s_addc_u32 s3, s19, 0
	v_mov_b32_e32 v1, v7
	v_mov_b32_e32 v11, v3
	s_add_u32 s6, s16, 8
	v_mov_b32_e32 v2, v8
	s_addc_u32 s7, s17, 0
	s_mov_b64 s[22:23], 1
	s_waitcnt lgkmcnt(0)
	s_add_u32 s20, s0, 8
	s_addc_u32 s21, s1, 0
.LBB0_2:                                ; =>This Inner Loop Header: Depth=1
	s_load_dwordx2 s[24:25], s[20:21], 0x0
                                        ; implicit-def: $vgpr5_vgpr6
	s_mov_b32 s0, exec_lo
	s_waitcnt lgkmcnt(0)
	v_or_b32_e32 v10, s25, v12
	v_cmpx_ne_u64_e32 0, v[9:10]
	s_xor_b32 s1, exec_lo, s0
	s_cbranch_execz .LBB0_4
; %bb.3:                                ;   in Loop: Header=BB0_2 Depth=1
	v_cvt_f32_u32_e32 v4, s24
	v_cvt_f32_u32_e32 v5, s25
	s_sub_u32 s0, 0, s24
	s_subb_u32 s26, 0, s25
	v_fmac_f32_e32 v4, 0x4f800000, v5
	v_rcp_f32_e32 v4, v4
	v_mul_f32_e32 v4, 0x5f7ffffc, v4
	v_mul_f32_e32 v5, 0x2f800000, v4
	v_trunc_f32_e32 v5, v5
	v_fmac_f32_e32 v4, 0xcf800000, v5
	v_cvt_u32_f32_e32 v5, v5
	v_cvt_u32_f32_e32 v4, v4
	v_mul_lo_u32 v6, s0, v5
	v_mul_hi_u32 v10, s0, v4
	v_mul_lo_u32 v13, s26, v4
	v_add_nc_u32_e32 v6, v10, v6
	v_mul_lo_u32 v10, s0, v4
	v_add_nc_u32_e32 v6, v6, v13
	v_mul_hi_u32 v13, v4, v10
	v_mul_lo_u32 v14, v4, v6
	v_mul_hi_u32 v15, v4, v6
	v_mul_hi_u32 v16, v5, v10
	v_mul_lo_u32 v10, v5, v10
	v_mul_hi_u32 v17, v5, v6
	v_mul_lo_u32 v6, v5, v6
	v_add_co_u32 v13, vcc_lo, v13, v14
	v_add_co_ci_u32_e32 v14, vcc_lo, 0, v15, vcc_lo
	v_add_co_u32 v10, vcc_lo, v13, v10
	v_add_co_ci_u32_e32 v10, vcc_lo, v14, v16, vcc_lo
	v_add_co_ci_u32_e32 v13, vcc_lo, 0, v17, vcc_lo
	v_add_co_u32 v6, vcc_lo, v10, v6
	v_add_co_ci_u32_e32 v10, vcc_lo, 0, v13, vcc_lo
	v_add_co_u32 v4, vcc_lo, v4, v6
	v_add_co_ci_u32_e32 v5, vcc_lo, v5, v10, vcc_lo
	v_mul_hi_u32 v6, s0, v4
	v_mul_lo_u32 v13, s26, v4
	v_mul_lo_u32 v10, s0, v5
	v_add_nc_u32_e32 v6, v6, v10
	v_mul_lo_u32 v10, s0, v4
	v_add_nc_u32_e32 v6, v6, v13
	v_mul_hi_u32 v13, v4, v10
	v_mul_lo_u32 v14, v4, v6
	v_mul_hi_u32 v15, v4, v6
	v_mul_hi_u32 v16, v5, v10
	v_mul_lo_u32 v10, v5, v10
	v_mul_hi_u32 v17, v5, v6
	v_mul_lo_u32 v6, v5, v6
	v_add_co_u32 v13, vcc_lo, v13, v14
	v_add_co_ci_u32_e32 v14, vcc_lo, 0, v15, vcc_lo
	v_add_co_u32 v10, vcc_lo, v13, v10
	v_add_co_ci_u32_e32 v10, vcc_lo, v14, v16, vcc_lo
	v_add_co_ci_u32_e32 v13, vcc_lo, 0, v17, vcc_lo
	v_add_co_u32 v6, vcc_lo, v10, v6
	v_add_co_ci_u32_e32 v10, vcc_lo, 0, v13, vcc_lo
	v_add_co_u32 v6, vcc_lo, v4, v6
	v_add_co_ci_u32_e32 v10, vcc_lo, v5, v10, vcc_lo
	v_mul_hi_u32 v17, v11, v6
	v_mad_u64_u32 v[13:14], null, v12, v6, 0
	v_mad_u64_u32 v[4:5], null, v11, v10, 0
	;; [unrolled: 1-line block ×3, first 2 shown]
	v_add_co_u32 v4, vcc_lo, v17, v4
	v_add_co_ci_u32_e32 v5, vcc_lo, 0, v5, vcc_lo
	v_add_co_u32 v4, vcc_lo, v4, v13
	v_add_co_ci_u32_e32 v4, vcc_lo, v5, v14, vcc_lo
	v_add_co_ci_u32_e32 v5, vcc_lo, 0, v16, vcc_lo
	v_add_co_u32 v10, vcc_lo, v4, v15
	v_add_co_ci_u32_e32 v6, vcc_lo, 0, v5, vcc_lo
	v_mul_lo_u32 v13, s25, v10
	v_mad_u64_u32 v[4:5], null, s24, v10, 0
	v_mul_lo_u32 v14, s24, v6
	v_sub_co_u32 v4, vcc_lo, v11, v4
	v_add3_u32 v5, v5, v14, v13
	v_sub_nc_u32_e32 v13, v12, v5
	v_subrev_co_ci_u32_e64 v13, s0, s25, v13, vcc_lo
	v_add_co_u32 v14, s0, v10, 2
	v_add_co_ci_u32_e64 v15, s0, 0, v6, s0
	v_sub_co_u32 v16, s0, v4, s24
	v_sub_co_ci_u32_e32 v5, vcc_lo, v12, v5, vcc_lo
	v_subrev_co_ci_u32_e64 v13, s0, 0, v13, s0
	v_cmp_le_u32_e32 vcc_lo, s24, v16
	v_cmp_eq_u32_e64 s0, s25, v5
	v_cndmask_b32_e64 v16, 0, -1, vcc_lo
	v_cmp_le_u32_e32 vcc_lo, s25, v13
	v_cndmask_b32_e64 v17, 0, -1, vcc_lo
	v_cmp_le_u32_e32 vcc_lo, s24, v4
	;; [unrolled: 2-line block ×3, first 2 shown]
	v_cndmask_b32_e64 v18, 0, -1, vcc_lo
	v_cmp_eq_u32_e32 vcc_lo, s25, v13
	v_cndmask_b32_e64 v4, v18, v4, s0
	v_cndmask_b32_e32 v13, v17, v16, vcc_lo
	v_add_co_u32 v16, vcc_lo, v10, 1
	v_add_co_ci_u32_e32 v17, vcc_lo, 0, v6, vcc_lo
	v_cmp_ne_u32_e32 vcc_lo, 0, v13
	v_cndmask_b32_e32 v5, v17, v15, vcc_lo
	v_cndmask_b32_e32 v13, v16, v14, vcc_lo
	v_cmp_ne_u32_e32 vcc_lo, 0, v4
	v_cndmask_b32_e32 v6, v6, v5, vcc_lo
	v_cndmask_b32_e32 v5, v10, v13, vcc_lo
.LBB0_4:                                ;   in Loop: Header=BB0_2 Depth=1
	s_andn2_saveexec_b32 s0, s1
	s_cbranch_execz .LBB0_6
; %bb.5:                                ;   in Loop: Header=BB0_2 Depth=1
	v_cvt_f32_u32_e32 v4, s24
	s_sub_i32 s1, 0, s24
	v_rcp_iflag_f32_e32 v4, v4
	v_mul_f32_e32 v4, 0x4f7ffffe, v4
	v_cvt_u32_f32_e32 v4, v4
	v_mul_lo_u32 v5, s1, v4
	v_mul_hi_u32 v5, v4, v5
	v_add_nc_u32_e32 v4, v4, v5
	v_mul_hi_u32 v4, v11, v4
	v_mul_lo_u32 v5, v4, s24
	v_add_nc_u32_e32 v6, 1, v4
	v_sub_nc_u32_e32 v5, v11, v5
	v_subrev_nc_u32_e32 v10, s24, v5
	v_cmp_le_u32_e32 vcc_lo, s24, v5
	v_cndmask_b32_e32 v5, v5, v10, vcc_lo
	v_cndmask_b32_e32 v4, v4, v6, vcc_lo
	v_cmp_le_u32_e32 vcc_lo, s24, v5
	v_add_nc_u32_e32 v6, 1, v4
	v_cndmask_b32_e32 v5, v4, v6, vcc_lo
	v_mov_b32_e32 v6, v9
.LBB0_6:                                ;   in Loop: Header=BB0_2 Depth=1
	s_or_b32 exec_lo, exec_lo, s0
	v_mul_lo_u32 v4, v6, s24
	v_mul_lo_u32 v10, v5, s25
	s_load_dwordx2 s[0:1], s[6:7], 0x0
	v_mad_u64_u32 v[13:14], null, v5, s24, 0
	s_load_dwordx2 s[24:25], s[2:3], 0x0
	s_add_u32 s22, s22, 1
	s_addc_u32 s23, s23, 0
	s_add_u32 s2, s2, 8
	s_addc_u32 s3, s3, 0
	s_add_u32 s6, s6, 8
	v_add3_u32 v4, v14, v10, v4
	v_sub_co_u32 v10, vcc_lo, v11, v13
	s_addc_u32 s7, s7, 0
	s_add_u32 s20, s20, 8
	v_sub_co_ci_u32_e32 v4, vcc_lo, v12, v4, vcc_lo
	s_addc_u32 s21, s21, 0
	s_waitcnt lgkmcnt(0)
	v_mul_lo_u32 v11, s0, v4
	v_mul_lo_u32 v12, s1, v10
	v_mad_u64_u32 v[7:8], null, s0, v10, v[7:8]
	v_mul_lo_u32 v4, s24, v4
	v_mul_lo_u32 v13, s25, v10
	v_mad_u64_u32 v[1:2], null, s24, v10, v[1:2]
	v_cmp_ge_u64_e64 s0, s[22:23], s[14:15]
	v_add3_u32 v8, v12, v8, v11
	v_add3_u32 v2, v13, v2, v4
	s_and_b32 vcc_lo, exec_lo, s0
	s_cbranch_vccnz .LBB0_8
; %bb.7:                                ;   in Loop: Header=BB0_2 Depth=1
	v_mov_b32_e32 v12, v6
	v_mov_b32_e32 v11, v5
	s_branch .LBB0_2
.LBB0_8:
	s_load_dwordx2 s[0:1], s[4:5], 0x28
	v_mul_hi_u32 v4, 0xaaaaaaab, v3
	v_mul_hi_u32 v9, 0xf0f0f10, v0
	s_lshl_b64 s[4:5], s[14:15], 3
	s_add_u32 s2, s18, s4
	s_addc_u32 s3, s19, s5
	v_lshrrev_b32_e32 v4, 1, v4
	v_lshl_add_u32 v4, v4, 1, v4
	v_sub_nc_u32_e32 v4, v3, v4
	s_waitcnt lgkmcnt(0)
	v_cmp_gt_u64_e32 vcc_lo, s[0:1], v[5:6]
	v_cmp_le_u64_e64 s0, s[0:1], v[5:6]
                                        ; implicit-def: $vgpr3
	s_and_saveexec_b32 s1, s0
	s_xor_b32 s0, exec_lo, s1
; %bb.9:
	v_mul_u32_u24_e32 v3, 17, v9
                                        ; implicit-def: $vgpr9
                                        ; implicit-def: $vgpr7_vgpr8
	v_sub_nc_u32_e32 v3, v0, v3
                                        ; implicit-def: $vgpr0
; %bb.10:
	s_or_saveexec_b32 s1, s0
	s_load_dwordx2 s[2:3], s[2:3], 0x0
	v_mul_u32_u24_e32 v4, 0x199, v4
	v_lshlrev_b32_e32 v40, 2, v4
	s_xor_b32 exec_lo, exec_lo, s1
	s_cbranch_execz .LBB0_14
; %bb.11:
	s_add_u32 s4, s16, s4
	s_addc_u32 s5, s17, s5
	v_lshlrev_b64 v[7:8], 2, v[7:8]
	s_load_dwordx2 s[4:5], s[4:5], 0x0
	s_waitcnt lgkmcnt(0)
	v_mul_lo_u32 v3, s5, v5
	v_mul_lo_u32 v12, s4, v6
	v_mad_u64_u32 v[10:11], null, s4, v5, 0
	s_mov_b32 s4, exec_lo
	v_add3_u32 v11, v11, v12, v3
	v_mul_u32_u24_e32 v3, 17, v9
	v_lshlrev_b64 v[9:10], 2, v[10:11]
	v_sub_nc_u32_e32 v3, v0, v3
	v_lshlrev_b32_e32 v11, 2, v3
	v_add_co_u32 v0, s0, s8, v9
	v_add_co_ci_u32_e64 v9, s0, s9, v10, s0
	v_add_co_u32 v7, s0, v0, v7
	v_add_co_ci_u32_e64 v8, s0, v9, v8, s0
	v_add3_u32 v0, 0, v40, v11
	v_add_co_u32 v9, s0, v7, v11
	v_add_co_ci_u32_e64 v10, s0, 0, v8, s0
	s_clause 0x17
	global_load_dword v12, v[9:10], off
	global_load_dword v13, v[9:10], off offset:68
	global_load_dword v14, v[9:10], off offset:136
	global_load_dword v15, v[9:10], off offset:204
	global_load_dword v16, v[9:10], off offset:272
	global_load_dword v17, v[9:10], off offset:340
	global_load_dword v18, v[9:10], off offset:408
	global_load_dword v19, v[9:10], off offset:476
	global_load_dword v20, v[9:10], off offset:544
	global_load_dword v21, v[9:10], off offset:612
	global_load_dword v22, v[9:10], off offset:680
	global_load_dword v23, v[9:10], off offset:748
	global_load_dword v24, v[9:10], off offset:816
	global_load_dword v25, v[9:10], off offset:884
	global_load_dword v26, v[9:10], off offset:952
	global_load_dword v27, v[9:10], off offset:1020
	global_load_dword v28, v[9:10], off offset:1088
	global_load_dword v29, v[9:10], off offset:1156
	global_load_dword v30, v[9:10], off offset:1224
	global_load_dword v31, v[9:10], off offset:1292
	global_load_dword v32, v[9:10], off offset:1360
	global_load_dword v33, v[9:10], off offset:1428
	global_load_dword v34, v[9:10], off offset:1496
	global_load_dword v9, v[9:10], off offset:1564
	v_add_nc_u32_e32 v10, 0x400, v0
	s_waitcnt vmcnt(22)
	ds_write2_b32 v0, v12, v13 offset1:17
	s_waitcnt vmcnt(20)
	ds_write2_b32 v0, v14, v15 offset0:34 offset1:51
	s_waitcnt vmcnt(18)
	ds_write2_b32 v0, v16, v17 offset0:68 offset1:85
	;; [unrolled: 2-line block ×11, first 2 shown]
	v_cmpx_eq_u32_e32 16, v3
	s_cbranch_execz .LBB0_13
; %bb.12:
	global_load_dword v7, v[7:8], off offset:1632
	v_mov_b32_e32 v3, 16
	s_waitcnt vmcnt(0)
	ds_write_b32 v0, v7 offset:1568
.LBB0_13:
	s_or_b32 exec_lo, exec_lo, s4
.LBB0_14:
	s_or_b32 exec_lo, exec_lo, s1
	v_lshl_add_u32 v0, v4, 2, 0
	v_lshlrev_b32_e32 v4, 2, v3
	s_waitcnt lgkmcnt(0)
	s_barrier
	buffer_gl0_inv
	s_mov_b32 s1, exec_lo
	v_add_nc_u32_e32 v39, v0, v4
	v_sub_nc_u32_e32 v9, v0, v4
                                        ; implicit-def: $vgpr7_vgpr8
	ds_read_u16 v12, v39
	ds_read_u16 v13, v9 offset:1632
	s_waitcnt lgkmcnt(0)
	v_add_f16_e32 v11, v13, v12
	v_sub_f16_e32 v10, v12, v13
	v_cmpx_ne_u32_e32 0, v3
	s_xor_b32 s1, exec_lo, s1
	s_cbranch_execz .LBB0_16
; %bb.15:
	v_mov_b32_e32 v4, 0
	v_add_f16_e32 v11, v13, v12
	v_sub_f16_e32 v12, v12, v13
	v_lshlrev_b64 v[7:8], 2, v[3:4]
	v_add_co_u32 v7, s0, s12, v7
	v_add_co_ci_u32_e64 v8, s0, s13, v8, s0
	global_load_dword v7, v[7:8], off offset:1564
	ds_read_u16 v8, v9 offset:1634
	ds_read_u16 v10, v39 offset:2
	s_waitcnt lgkmcnt(0)
	v_add_f16_e32 v13, v8, v10
	v_sub_f16_e32 v8, v10, v8
	s_waitcnt vmcnt(0)
	v_lshrrev_b32_e32 v14, 16, v7
	v_fma_f16 v15, -v12, v14, v11
	v_fma_f16 v16, v13, v14, -v8
	v_fma_f16 v10, v13, v14, v8
	v_fma_f16 v11, v12, v14, v11
	v_fmac_f16_e32 v15, v7, v13
	v_fmac_f16_e32 v16, v12, v7
	;; [unrolled: 1-line block ×3, first 2 shown]
	v_fma_f16 v11, -v7, v13, v11
	v_mov_b32_e32 v8, v4
	v_mov_b32_e32 v7, v3
	v_pack_b32_f16 v12, v15, v16
	ds_write_b32 v9, v12 offset:1632
.LBB0_16:
	s_andn2_saveexec_b32 s0, s1
	s_cbranch_execz .LBB0_18
; %bb.17:
	ds_read_b32 v4, v0 offset:816
	v_mov_b32_e32 v7, 0
	v_mov_b32_e32 v8, 0
	s_waitcnt lgkmcnt(0)
	v_pk_mul_f16 v4, 0xc0004000, v4
	ds_write_b32 v0, v4 offset:816
.LBB0_18:
	s_or_b32 exec_lo, exec_lo, s0
	v_lshlrev_b64 v[7:8], 2, v[7:8]
	s_add_u32 s0, s12, 0x61c
	s_addc_u32 s1, s13, 0
	v_perm_b32 v10, v10, v11, 0x5040100
	v_mov_b32_e32 v44, 0xbb29
	v_mov_b32_e32 v42, 0xbbf7
	v_add_co_u32 v7, s0, s0, v7
	v_add_co_ci_u32_e64 v8, s0, s1, v8, s0
	v_mov_b32_e32 v43, 0xba62
	v_mov_b32_e32 v49, 0xb5c8
	;; [unrolled: 1-line block ×3, first 2 shown]
	s_clause 0x6
	global_load_dword v4, v[7:8], off offset:68
	global_load_dword v12, v[7:8], off offset:136
	;; [unrolled: 1-line block ×7, first 2 shown]
	ds_write_b32 v39, v10
	ds_read_b32 v10, v39 offset:68
	ds_read_b32 v11, v9 offset:1564
	global_load_dword v18, v[7:8], off offset:544
	v_mov_b32_e32 v52, 0xbbb2
	v_mov_b32_e32 v45, 0xb1e1
	v_mov_b32_e32 v46, 0x3bb2
	v_mov_b32_e32 v48, 0x31e1
	v_mov_b32_e32 v50, 0x3964
	v_mov_b32_e32 v55, 0x3836
	v_mov_b32_e32 v53, 0xb964
	v_mov_b32_e32 v57, 0x3b29
	v_mov_b32_e32 v51, 0x35c8
	v_mov_b32_e32 v54, 0x3a62
	v_mov_b32_e32 v56, 0x3bf7
	s_mov_b32 s1, exec_lo
	s_waitcnt lgkmcnt(0)
	v_add_f16_e32 v19, v10, v11
	v_add_f16_sdwa v20, v11, v10 dst_sel:DWORD dst_unused:UNUSED_PAD src0_sel:WORD_1 src1_sel:WORD_1
	v_sub_f16_e32 v21, v10, v11
	v_sub_f16_sdwa v10, v10, v11 dst_sel:DWORD dst_unused:UNUSED_PAD src0_sel:WORD_1 src1_sel:WORD_1
	s_waitcnt vmcnt(7)
	v_lshrrev_b32_e32 v22, 16, v4
	v_fma_f16 v11, v21, v22, v19
	v_fma_f16 v23, v20, v22, v10
	v_fma_f16 v19, -v21, v22, v19
	v_fma_f16 v10, v20, v22, -v10
	v_fma_f16 v11, -v4, v20, v11
	v_fmac_f16_e32 v23, v21, v4
	v_fmac_f16_e32 v19, v4, v20
	;; [unrolled: 1-line block ×3, first 2 shown]
	v_pack_b32_f16 v4, v11, v23
	s_waitcnt vmcnt(6)
	v_lshrrev_b32_e32 v11, 16, v12
	v_pack_b32_f16 v10, v19, v10
	ds_write_b32 v39, v4 offset:68
	ds_write_b32 v9, v10 offset:1564
	ds_read_b32 v4, v39 offset:136
	ds_read_b32 v10, v9 offset:1496
	s_waitcnt lgkmcnt(0)
	v_add_f16_e32 v19, v4, v10
	v_add_f16_sdwa v20, v10, v4 dst_sel:DWORD dst_unused:UNUSED_PAD src0_sel:WORD_1 src1_sel:WORD_1
	v_sub_f16_e32 v21, v4, v10
	v_sub_f16_sdwa v4, v4, v10 dst_sel:DWORD dst_unused:UNUSED_PAD src0_sel:WORD_1 src1_sel:WORD_1
	global_load_dword v10, v[7:8], off offset:612
	v_fma_f16 v22, v21, v11, v19
	v_fma_f16 v23, v20, v11, v4
	v_fma_f16 v19, -v21, v11, v19
	v_fma_f16 v4, v20, v11, -v4
	v_fma_f16 v11, -v12, v20, v22
	v_fmac_f16_e32 v23, v21, v12
	v_fmac_f16_e32 v19, v12, v20
	;; [unrolled: 1-line block ×3, first 2 shown]
	s_waitcnt vmcnt(6)
	v_lshrrev_b32_e32 v12, 16, v13
	v_pack_b32_f16 v11, v11, v23
	v_pack_b32_f16 v4, v19, v4
	ds_write_b32 v39, v11 offset:136
	ds_write_b32 v9, v4 offset:1496
	ds_read_b32 v4, v39 offset:204
	ds_read_b32 v11, v9 offset:1428
	s_waitcnt lgkmcnt(0)
	v_add_f16_e32 v19, v4, v11
	v_add_f16_sdwa v20, v11, v4 dst_sel:DWORD dst_unused:UNUSED_PAD src0_sel:WORD_1 src1_sel:WORD_1
	v_sub_f16_e32 v21, v4, v11
	v_sub_f16_sdwa v4, v4, v11 dst_sel:DWORD dst_unused:UNUSED_PAD src0_sel:WORD_1 src1_sel:WORD_1
	global_load_dword v11, v[7:8], off offset:680
	v_fma_f16 v22, v21, v12, v19
	v_fma_f16 v23, v20, v12, v4
	v_fma_f16 v19, -v21, v12, v19
	v_fma_f16 v4, v20, v12, -v4
	v_fma_f16 v12, -v13, v20, v22
	v_fmac_f16_e32 v23, v21, v13
	v_fmac_f16_e32 v19, v13, v20
	;; [unrolled: 1-line block ×3, first 2 shown]
	s_waitcnt vmcnt(6)
	v_lshrrev_b32_e32 v13, 16, v14
	v_pack_b32_f16 v12, v12, v23
	v_pack_b32_f16 v4, v19, v4
	ds_write_b32 v39, v12 offset:204
	ds_write_b32 v9, v4 offset:1428
	ds_read_b32 v4, v39 offset:272
	ds_read_b32 v12, v9 offset:1360
	s_waitcnt lgkmcnt(0)
	v_add_f16_e32 v19, v4, v12
	v_add_f16_sdwa v20, v12, v4 dst_sel:DWORD dst_unused:UNUSED_PAD src0_sel:WORD_1 src1_sel:WORD_1
	v_sub_f16_e32 v21, v4, v12
	v_sub_f16_sdwa v12, v4, v12 dst_sel:DWORD dst_unused:UNUSED_PAD src0_sel:WORD_1 src1_sel:WORD_1
	global_load_dword v4, v[7:8], off offset:748
	v_fma_f16 v7, v21, v13, v19
	v_fma_f16 v8, v20, v13, v12
	v_fma_f16 v19, -v21, v13, v19
	v_fma_f16 v12, v20, v13, -v12
	v_fma_f16 v7, -v14, v20, v7
	v_fmac_f16_e32 v8, v21, v14
	v_fmac_f16_e32 v19, v14, v20
	;; [unrolled: 1-line block ×3, first 2 shown]
	v_pack_b32_f16 v7, v7, v8
	v_pack_b32_f16 v8, v19, v12
	ds_write_b32 v39, v7 offset:272
	ds_write_b32 v9, v8 offset:1360
	ds_read_b32 v7, v39 offset:340
	ds_read_b32 v8, v9 offset:1292
	s_waitcnt vmcnt(6)
	v_lshrrev_b32_e32 v12, 16, v15
	s_waitcnt lgkmcnt(0)
	v_add_f16_e32 v13, v7, v8
	v_add_f16_sdwa v14, v8, v7 dst_sel:DWORD dst_unused:UNUSED_PAD src0_sel:WORD_1 src1_sel:WORD_1
	v_sub_f16_e32 v19, v7, v8
	v_sub_f16_sdwa v7, v7, v8 dst_sel:DWORD dst_unused:UNUSED_PAD src0_sel:WORD_1 src1_sel:WORD_1
	v_fma_f16 v8, v19, v12, v13
	v_fma_f16 v20, v14, v12, v7
	v_fma_f16 v13, -v19, v12, v13
	v_fma_f16 v7, v14, v12, -v7
	s_waitcnt vmcnt(5)
	v_lshrrev_b32_e32 v12, 16, v16
	v_fma_f16 v8, -v15, v14, v8
	v_fmac_f16_e32 v20, v19, v15
	v_fmac_f16_e32 v13, v15, v14
	v_fmac_f16_e32 v7, v19, v15
	v_pack_b32_f16 v8, v8, v20
	v_pack_b32_f16 v7, v13, v7
	ds_write_b32 v39, v8 offset:340
	ds_write_b32 v9, v7 offset:1292
	ds_read_b32 v7, v39 offset:408
	ds_read_b32 v8, v9 offset:1224
	s_waitcnt lgkmcnt(0)
	v_add_f16_e32 v13, v7, v8
	v_add_f16_sdwa v14, v8, v7 dst_sel:DWORD dst_unused:UNUSED_PAD src0_sel:WORD_1 src1_sel:WORD_1
	v_sub_f16_e32 v15, v7, v8
	v_sub_f16_sdwa v7, v7, v8 dst_sel:DWORD dst_unused:UNUSED_PAD src0_sel:WORD_1 src1_sel:WORD_1
	v_fma_f16 v8, v15, v12, v13
	v_fma_f16 v19, v14, v12, v7
	v_fma_f16 v13, -v15, v12, v13
	v_fma_f16 v7, v14, v12, -v7
	s_waitcnt vmcnt(4)
	v_lshrrev_b32_e32 v12, 16, v17
	v_fma_f16 v8, -v16, v14, v8
	v_fmac_f16_e32 v19, v15, v16
	v_fmac_f16_e32 v13, v16, v14
	v_fmac_f16_e32 v7, v15, v16
	v_pack_b32_f16 v8, v8, v19
	v_pack_b32_f16 v7, v13, v7
	ds_write_b32 v39, v8 offset:408
	ds_write_b32 v9, v7 offset:1224
	ds_read_b32 v7, v39 offset:476
	ds_read_b32 v8, v9 offset:1156
	;; [unrolled: 21-line block ×3, first 2 shown]
	s_waitcnt lgkmcnt(0)
	v_add_f16_e32 v13, v7, v8
	v_add_f16_sdwa v14, v8, v7 dst_sel:DWORD dst_unused:UNUSED_PAD src0_sel:WORD_1 src1_sel:WORD_1
	v_sub_f16_e32 v15, v7, v8
	v_sub_f16_sdwa v7, v7, v8 dst_sel:DWORD dst_unused:UNUSED_PAD src0_sel:WORD_1 src1_sel:WORD_1
	v_fma_f16 v8, v15, v12, v13
	v_fma_f16 v16, v14, v12, v7
	v_fma_f16 v13, -v15, v12, v13
	v_fma_f16 v7, v14, v12, -v7
	v_xor_b32_e32 v12, 0xff, v3
	v_fma_f16 v8, -v18, v14, v8
	v_fmac_f16_e32 v16, v15, v18
	v_fmac_f16_e32 v13, v18, v14
	v_fmac_f16_e32 v7, v15, v18
	v_lshl_add_u32 v12, v12, 2, v0
	v_pack_b32_f16 v8, v8, v16
	v_pack_b32_f16 v7, v13, v7
	ds_write_b32 v39, v8 offset:544
	ds_write_b32 v9, v7 offset:1088
	ds_read_b32 v7, v39 offset:612
	ds_read_b32 v8, v12
	s_waitcnt lgkmcnt(0)
	v_add_f16_e32 v14, v7, v8
	v_add_f16_sdwa v15, v8, v7 dst_sel:DWORD dst_unused:UNUSED_PAD src0_sel:WORD_1 src1_sel:WORD_1
	v_sub_f16_e32 v16, v7, v8
	v_sub_f16_sdwa v7, v7, v8 dst_sel:DWORD dst_unused:UNUSED_PAD src0_sel:WORD_1 src1_sel:WORD_1
	s_waitcnt vmcnt(2)
	v_lshrrev_b32_e32 v13, 16, v10
	v_fma_f16 v8, v16, v13, v14
	v_fma_f16 v17, v15, v13, v7
	v_fma_f16 v14, -v16, v13, v14
	v_fma_f16 v7, v15, v13, -v7
	v_fma_f16 v8, -v10, v15, v8
	v_fmac_f16_e32 v17, v16, v10
	v_fmac_f16_e32 v14, v10, v15
	;; [unrolled: 1-line block ×3, first 2 shown]
	v_pack_b32_f16 v8, v8, v17
	v_pack_b32_f16 v7, v14, v7
	ds_write_b32 v39, v8 offset:612
	ds_write_b32 v12, v7
	ds_read_b32 v7, v39 offset:680
	ds_read_b32 v8, v9 offset:952
	s_waitcnt lgkmcnt(0)
	v_add_f16_e32 v12, v7, v8
	v_add_f16_sdwa v13, v8, v7 dst_sel:DWORD dst_unused:UNUSED_PAD src0_sel:WORD_1 src1_sel:WORD_1
	s_waitcnt vmcnt(1)
	v_lshrrev_b32_e32 v10, 16, v11
	v_sub_f16_e32 v14, v7, v8
	v_sub_f16_sdwa v7, v7, v8 dst_sel:DWORD dst_unused:UNUSED_PAD src0_sel:WORD_1 src1_sel:WORD_1
	v_fma_f16 v8, v14, v10, v12
	v_fma_f16 v15, v13, v10, v7
	v_fma_f16 v12, -v14, v10, v12
	v_fma_f16 v7, v13, v10, -v7
	v_fma_f16 v8, -v11, v13, v8
	v_fmac_f16_e32 v15, v14, v11
	v_fmac_f16_e32 v12, v11, v13
	;; [unrolled: 1-line block ×3, first 2 shown]
	v_pack_b32_f16 v8, v8, v15
	v_pack_b32_f16 v7, v12, v7
	ds_write_b32 v39, v8 offset:680
	ds_write_b32 v9, v7 offset:952
	ds_read_b32 v8, v39 offset:748
	ds_read_b32 v10, v9 offset:884
	v_lshl_add_u32 v7, v3, 2, 0
	s_waitcnt lgkmcnt(0)
	v_add_f16_e32 v12, v8, v10
	s_waitcnt vmcnt(0)
	v_lshrrev_b32_e32 v11, 16, v4
	v_add_f16_sdwa v13, v10, v8 dst_sel:DWORD dst_unused:UNUSED_PAD src0_sel:WORD_1 src1_sel:WORD_1
	v_sub_f16_e32 v14, v8, v10
	v_sub_f16_sdwa v8, v8, v10 dst_sel:DWORD dst_unused:UNUSED_PAD src0_sel:WORD_1 src1_sel:WORD_1
	v_mul_u32_u24_e32 v10, 0x44, v3
	v_fma_f16 v15, v14, v11, v12
	v_fma_f16 v16, v13, v11, v8
	v_fma_f16 v12, -v14, v11, v12
	v_fma_f16 v8, v13, v11, -v8
	v_add3_u32 v59, 0, v10, v40
	v_fma_f16 v11, -v4, v13, v15
	v_fmac_f16_e32 v16, v14, v4
	v_fmac_f16_e32 v12, v4, v13
	;; [unrolled: 1-line block ×3, first 2 shown]
	v_add_nc_u32_e32 v4, v7, v40
	v_pack_b32_f16 v7, v11, v16
	v_pack_b32_f16 v8, v12, v8
	v_add_nc_u32_e32 v41, 0x400, v4
	ds_write_b32 v39, v7 offset:748
	ds_write_b32 v9, v8 offset:884
	s_waitcnt lgkmcnt(0)
	s_barrier
	buffer_gl0_inv
	s_barrier
	buffer_gl0_inv
	ds_read2_b32 v[7:8], v4 offset0:17 offset1:24
	ds_read2_b32 v[9:10], v41 offset0:121 offset1:128
	;; [unrolled: 1-line block ×16, first 2 shown]
	ds_read_b32 v63, v39
	ds_read_b32 v58, v4 offset:1604
	s_waitcnt lgkmcnt(0)
	s_barrier
	buffer_gl0_inv
	v_pk_add_f16 v87, v10, v8
	v_pk_add_f16 v88, v8, v10 neg_lo:[0,1] neg_hi:[0,1]
	v_pk_add_f16 v86, v12, v38
	v_pk_add_f16 v89, v38, v12 neg_lo:[0,1] neg_hi:[0,1]
	;; [unrolled: 2-line block ×3, first 2 shown]
	v_lshrrev_b32_e32 v92, 16, v87
	v_mul_f16_sdwa v93, v88, v44 dst_sel:DWORD dst_unused:UNUSED_PAD src0_sel:WORD_1 src1_sel:DWORD
	v_mul_f16_e32 v94, 0xbb29, v88
	v_mul_f16_sdwa v95, v88, v42 dst_sel:DWORD dst_unused:UNUSED_PAD src0_sel:WORD_1 src1_sel:DWORD
	v_mul_f16_sdwa v116, v88, v52 dst_sel:DWORD dst_unused:UNUSED_PAD src0_sel:WORD_1 src1_sel:DWORD
	;; [unrolled: 1-line block ×3, first 2 shown]
	v_pk_mul_f16 v138, 0xbbdd, v87 op_sel_hi:[0,1]
	v_pk_mul_f16 v139, 0x3b76, v86 op_sel_hi:[0,1]
	;; [unrolled: 1-line block ×3, first 2 shown]
	v_mul_f16_sdwa v141, v88, v47 dst_sel:DWORD dst_unused:UNUSED_PAD src0_sel:WORD_1 src1_sel:DWORD
	v_mul_f16_sdwa v147, v88, v49 dst_sel:DWORD dst_unused:UNUSED_PAD src0_sel:WORD_1 src1_sel:DWORD
	v_pk_mul_f16 v149, 0x3b7639e9, v87
	v_mul_f16_e32 v150, 0xb964, v88
	v_pk_mul_f16 v151, 0x39e92de8, v86
	v_pk_mul_f16 v154, 0x3722b8d2, v85
	v_pk_add_f16 v91, v63, v8
	v_mul_f16_e32 v96, 0xbbf7, v88
	v_lshrrev_b32_e32 v97, 16, v86
	v_mul_f16_sdwa v98, v89, v43 dst_sel:DWORD dst_unused:UNUSED_PAD src0_sel:WORD_1 src1_sel:DWORD
	v_mul_f16_e32 v99, 0xba62, v89
	v_mul_f16_sdwa v100, v89, v45 dst_sel:DWORD dst_unused:UNUSED_PAD src0_sel:WORD_1 src1_sel:DWORD
	v_mul_f16_e32 v101, 0xb1e1, v89
	;; [unrolled: 2-line block ×5, first 2 shown]
	v_mul_f16_e32 v119, 0x3836, v89
	v_mul_f16_sdwa v121, v89, v46 dst_sel:DWORD dst_unused:UNUSED_PAD src0_sel:WORD_1 src1_sel:DWORD
	v_mul_f16_e32 v122, 0xba62, v88
	v_mul_f16_e32 v123, 0x3bb2, v89
	v_mul_f16_sdwa v124, v90, v50 dst_sel:DWORD dst_unused:UNUSED_PAD src0_sel:WORD_1 src1_sel:DWORD
	v_mul_f16_e32 v125, 0x3964, v90
	v_mul_f16_sdwa v126, v90, v49 dst_sel:DWORD dst_unused:UNUSED_PAD src0_sel:WORD_1 src1_sel:DWORD
	;; [unrolled: 2-line block ×3, first 2 shown]
	v_mul_f16_e32 v143, 0xb836, v88
	v_mul_f16_e32 v144, 0x3b29, v89
	v_mul_f16_sdwa v145, v90, v42 dst_sel:DWORD dst_unused:UNUSED_PAD src0_sel:WORD_1 src1_sel:DWORD
	v_mul_f16_e32 v146, 0xbbf7, v90
	v_mul_f16_sdwa v148, v89, v53 dst_sel:DWORD dst_unused:UNUSED_PAD src0_sel:WORD_1 src1_sel:DWORD
	v_mul_f16_e32 v152, 0xbbf7, v89
	v_mul_f16_sdwa v153, v90, v44 dst_sel:DWORD dst_unused:UNUSED_PAD src0_sel:WORD_1 src1_sel:DWORD
	v_mul_f16_e32 v155, 0xba62, v90
	v_fma_f16 v156, v87, 0x3722, -v93
	v_fmamk_f16 v157, v92, 0x3722, v94
	v_fma_f16 v158, v87, 0x2de8, -v95
	v_fma_f16 v168, v87, 0xb461, -v116
	;; [unrolled: 1-line block ×3, first 2 shown]
	v_pk_fma_f16 v180, 0xb1e1, v88, v138 op_sel:[0,0,1] op_sel_hi:[0,1,0] neg_lo:[0,1,0] neg_hi:[0,1,0]
	v_pk_fma_f16 v181, 0x35c8, v89, v139 op_sel:[0,0,1] op_sel_hi:[0,1,0] neg_lo:[0,1,0] neg_hi:[0,1,0]
	v_pk_fma_f16 v138, 0xb1e1, v88, v138 op_sel:[0,0,1] op_sel_hi:[0,1,0]
	v_pk_fma_f16 v139, 0x35c8, v89, v139 op_sel:[0,0,1] op_sel_hi:[0,1,0]
	v_pk_fma_f16 v182, 0xb836, v90, v140 op_sel:[0,0,1] op_sel_hi:[0,1,0] neg_lo:[0,1,0] neg_hi:[0,1,0]
	v_pk_fma_f16 v140, 0xb836, v90, v140 op_sel:[0,0,1] op_sel_hi:[0,1,0]
	v_fmac_f16_e32 v120, 0xb8d2, v87
	v_fma_f16 v183, v87, 0xbacd, -v141
	v_fmac_f16_e32 v141, 0xbacd, v87
	v_fmac_f16_e32 v95, 0x2de8, v87
	;; [unrolled: 1-line block ×3, first 2 shown]
	v_pk_fma_f16 v189, 0xb964b5c8, v88, v149 op_sel:[0,0,1] op_sel_hi:[1,1,0] neg_lo:[0,1,0] neg_hi:[0,1,0]
	v_pk_fma_f16 v88, 0xb964b5c8, v88, v149 op_sel:[0,0,1] op_sel_hi:[1,1,0]
	v_pk_fma_f16 v149, 0xbbf7b964, v89, v151 op_sel:[0,0,1] op_sel_hi:[1,1,0] neg_lo:[0,1,0] neg_hi:[0,1,0]
	v_pk_fma_f16 v89, 0xbbf7b964, v89, v151 op_sel:[0,0,1] op_sel_hi:[1,1,0]
	;; [unrolled: 2-line block ×3, first 2 shown]
	v_fma_f16 v154, v87, 0x3b76, -v147
	v_fmac_f16_e32 v147, 0x3b76, v87
	v_fmac_f16_e32 v93, 0x3722, v87
	v_fmamk_f16 v87, v92, 0x39e9, v150
	v_pk_add_f16 v38, v91, v38
	v_pk_add_f16 v66, v16, v34
	v_pk_add_f16 v72, v34, v16 neg_lo:[0,1] neg_hi:[0,1]
	v_lshrrev_b32_e32 v102, 16, v85
	v_fmamk_f16 v159, v92, 0x2de8, v96
	v_fma_f16 v160, v86, 0xb8d2, -v98
	v_fmamk_f16 v161, v97, 0xb8d2, v99
	v_fma_f16 v162, v86, 0xbbdd, -v100
	v_fma_f16 v169, v86, 0xbacd, -v117
	v_fmamk_f16 v170, v92, 0xb461, v118
	v_fma_f16 v173, v86, 0xb461, -v121
	v_fmamk_f16 v174, v92, 0xb8d2, v122
	v_fmac_f16_e32 v121, 0xb461, v86
	v_fma_f16 v122, v92, 0xb8d2, -v122
	v_fma_f16 v184, v86, 0x3722, -v142
	v_fmac_f16_e32 v142, 0x3722, v86
	v_fma_f16 v185, v92, 0xbacd, -v143
	v_fmac_f16_e32 v100, 0xbbdd, v86
	v_fma_f16 v96, v92, 0x2de8, -v96
	v_fmac_f16_e32 v117, 0xbacd, v86
	v_fma_f16 v118, v92, 0xb461, -v118
	v_fmamk_f16 v143, v92, 0xbacd, v143
	v_fma_f16 v150, v92, 0x39e9, -v150
	v_fma_f16 v92, v92, 0x3722, -v94
	;; [unrolled: 1-line block ×3, first 2 shown]
	v_fmac_f16_e32 v148, 0x39e9, v86
	v_fmac_f16_e32 v98, 0xb8d2, v86
	v_fmamk_f16 v86, v97, 0x2de8, v152
	v_add_f16_sdwa v157, v63, v157 dst_sel:DWORD dst_unused:UNUSED_PAD src0_sel:WORD_1 src1_sel:DWORD
	v_add_f16_e32 v158, v63, v158
	v_add_f16_e32 v154, v63, v154
	v_add_f16_sdwa v87, v63, v87 dst_sel:DWORD dst_unused:UNUSED_PAD src0_sel:WORD_1 src1_sel:DWORD
	v_add_f16_e32 v183, v63, v183
	v_pk_add_f16 v36, v38, v36
	v_lshrrev_b32_e32 v82, 16, v66
	v_mul_f16_e32 v83, 0x3bb2, v72
	v_mul_f16_sdwa v106, v72, v51 dst_sel:DWORD dst_unused:UNUSED_PAD src0_sel:WORD_1 src1_sel:DWORD
	v_fmamk_f16 v163, v97, 0xbbdd, v101
	v_fma_f16 v164, v85, 0xbbdd, -v84
	v_fmamk_f16 v165, v102, 0xbbdd, v103
	v_fma_f16 v166, v85, 0xb461, -v104
	v_fmamk_f16 v171, v97, 0xbacd, v119
	v_fmamk_f16 v175, v97, 0xb461, v123
	v_fma_f16 v176, v85, 0x39e9, -v124
	v_fma_f16 v178, v85, 0x3b76, -v126
	;; [unrolled: 1-line block ×4, first 2 shown]
	v_fmac_f16_e32 v126, 0x3b76, v85
	v_fma_f16 v187, v85, 0x2de8, -v145
	v_fmac_f16_e32 v145, 0x2de8, v85
	v_fma_f16 v101, v97, 0xbbdd, -v101
	v_fma_f16 v119, v97, 0xbacd, -v119
	v_fmac_f16_e32 v104, 0xb461, v85
	v_fmac_f16_e32 v124, 0x39e9, v85
	v_fmamk_f16 v144, v97, 0x3722, v144
	v_fma_f16 v152, v97, 0x2de8, -v152
	v_fma_f16 v97, v97, 0xb8d2, -v99
	;; [unrolled: 1-line block ×3, first 2 shown]
	v_fmac_f16_e32 v153, 0x3722, v85
	v_fmac_f16_e32 v84, 0xbbdd, v85
	v_fmamk_f16 v85, v102, 0xb8d2, v155
	v_add_f16_sdwa v159, v63, v159 dst_sel:DWORD dst_unused:UNUSED_PAD src0_sel:WORD_1 src1_sel:DWORD
	v_add_f16_e32 v157, v161, v157
	v_add_f16_e32 v168, v63, v168
	;; [unrolled: 1-line block ×3, first 2 shown]
	v_add_f16_sdwa v170, v63, v170 dst_sel:DWORD dst_unused:UNUSED_PAD src0_sel:WORD_1 src1_sel:DWORD
	v_add_f16_e32 v95, v63, v95
	v_add_f16_e32 v94, v94, v154
	;; [unrolled: 1-line block ×3, first 2 shown]
	v_add_f16_sdwa v143, v63, v143 dst_sel:DWORD dst_unused:UNUSED_PAD src0_sel:WORD_1 src1_sel:DWORD
	v_add_f16_e32 v183, v184, v183
	v_pk_add_f16 v34, v36, v34
	v_pk_add_f16 v69, v32, v18 neg_lo:[0,1] neg_hi:[0,1]
	v_pk_add_f16 v65, v18, v32
	v_mul_f16_e32 v107, 0x35c8, v72
	v_mul_f16_sdwa v128, v72, v44 dst_sel:DWORD dst_unused:UNUSED_PAD src0_sel:WORD_1 src1_sel:DWORD
	v_mul_f16_e32 v129, 0xbb29, v72
	v_fmamk_f16 v167, v102, 0xb461, v105
	v_fmamk_f16 v177, v102, 0x39e9, v125
	v_fma_f16 v188, v102, 0x2de8, -v146
	v_fmamk_f16 v146, v102, 0x2de8, v146
	v_add_f16_e32 v156, v63, v156
	v_add_f16_e32 v159, v163, v159
	;; [unrolled: 1-line block ×4, first 2 shown]
	v_add_f16_sdwa v174, v63, v174 dst_sel:DWORD dst_unused:UNUSED_PAD src0_sel:WORD_1 src1_sel:DWORD
	v_add_f16_e32 v170, v171, v170
	v_add_f16_e32 v120, v63, v120
	v_add_f16_sdwa v96, v63, v96 dst_sel:DWORD dst_unused:UNUSED_PAD src0_sel:WORD_1 src1_sel:DWORD
	v_add_f16_e32 v95, v100, v95
	v_add_f16_e32 v143, v144, v143
	;; [unrolled: 1-line block ×6, first 2 shown]
	v_fmamk_f16 v86, v82, 0xb461, v83
	v_add_f16_e32 v99, v187, v183
	v_fma_f16 v183, v66, 0x3b76, -v106
	v_pk_add_f16 v32, v34, v32
	v_lshrrev_b32_e32 v80, 16, v65
	v_mul_f16_e32 v81, 0x3964, v69
	v_mul_f16_sdwa v130, v72, v47 dst_sel:DWORD dst_unused:UNUSED_PAD src0_sel:WORD_1 src1_sel:DWORD
	v_mul_f16_e32 v131, 0xb836, v72
	v_fmamk_f16 v179, v102, 0x3b76, v127
	v_fma_f16 v105, v102, 0xb461, -v105
	v_add_f16_e32 v156, v160, v156
	v_pk_add_f16 v180, v63, v180 op_sel:[1,0] op_sel_hi:[0,1]
	v_add_f16_e32 v172, v173, v172
	v_add_f16_e32 v174, v175, v174
	v_pk_add_f16 v138, v63, v138 op_sel:[1,0] op_sel_hi:[0,1]
	v_add_f16_sdwa v122, v63, v122 dst_sel:DWORD dst_unused:UNUSED_PAD src0_sel:WORD_1 src1_sel:DWORD
	v_add_f16_e32 v120, v121, v120
	v_add_f16_sdwa v185, v63, v185 dst_sel:DWORD dst_unused:UNUSED_PAD src0_sel:WORD_1 src1_sel:DWORD
	v_add_f16_e32 v116, v63, v116
	v_add_f16_e32 v96, v101, v96
	v_add_f16_sdwa v118, v63, v118 dst_sel:DWORD dst_unused:UNUSED_PAD src0_sel:WORD_1 src1_sel:DWORD
	v_add_f16_e32 v159, v167, v159
	v_add_f16_e32 v168, v176, v168
	;; [unrolled: 1-line block ×4, first 2 shown]
	v_pk_add_f16 v104, v63, v88 op_sel:[1,0] op_sel_hi:[0,1]
	v_bfi_b32 v88, 0xffff, v88, v189
	v_add_f16_e32 v143, v146, v143
	v_fmamk_f16 v146, v82, 0x3b76, v107
	v_add_f16_e32 v86, v86, v157
	v_fma_f16 v157, v66, 0x3722, -v128
	v_add_f16_e32 v158, v183, v158
	v_fmamk_f16 v183, v82, 0x3722, v129
	v_pk_add_f16 v68, v30, v20 neg_lo:[0,1] neg_hi:[0,1]
	v_pk_add_f16 v64, v20, v30
	v_pk_add_f16 v30, v32, v30
	v_mul_f16_sdwa v79, v72, v46 dst_sel:DWORD dst_unused:UNUSED_PAD src0_sel:WORD_1 src1_sel:DWORD
	v_mul_f16_sdwa v108, v69, v44 dst_sel:DWORD dst_unused:UNUSED_PAD src0_sel:WORD_1 src1_sel:DWORD
	v_mul_f16_e32 v109, 0xbb29, v69
	v_mul_f16_sdwa v132, v69, v45 dst_sel:DWORD dst_unused:UNUSED_PAD src0_sel:WORD_1 src1_sel:DWORD
	v_fma_f16 v127, v102, 0x3b76, -v127
	v_fma_f16 v125, v102, 0x39e9, -v125
	v_pk_add_f16 v180, v181, v180
	v_pk_add_f16 v138, v139, v138
	v_pk_mul_f16 v139, 0x39e9, v66 op_sel_hi:[0,1]
	v_add_f16_e32 v141, v63, v141
	v_add_f16_e32 v122, v123, v122
	;; [unrolled: 1-line block ×3, first 2 shown]
	v_mul_f16_e32 v101, 0x3a62, v72
	v_add_f16_e32 v116, v117, v116
	v_add_f16_e32 v118, v119, v118
	;; [unrolled: 1-line block ×4, first 2 shown]
	v_pk_mul_f16 v164, 0x2de8bbdd, v66
	v_add_f16_e32 v172, v178, v172
	v_add_f16_e32 v174, v179, v174
	;; [unrolled: 1-line block ×4, first 2 shown]
	v_pk_add_f16 v104, v89, v104
	v_bfi_b32 v89, 0xffff, v89, v149
	v_pk_add_f16 v88, v63, v88 op_sel:[1,0] op_sel_hi:[0,1]
	v_add_f16_e32 v146, v146, v159
	v_fma_f16 v159, v66, 0xbacd, -v130
	v_add_f16_e32 v157, v157, v168
	v_fmamk_f16 v168, v82, 0xbacd, v131
	v_add_f16_e32 v170, v183, v170
	v_fmamk_f16 v183, v80, 0x39e9, v81
	v_fmac_f16_e32 v130, 0xbacd, v66
	v_fma_f16 v107, v82, 0x3b76, -v107
	v_pk_add_f16 v67, v28, v22 neg_lo:[0,1] neg_hi:[0,1]
	v_pk_add_f16 v61, v22, v28
	v_pk_add_f16 v28, v30, v28
	v_mul_f16_sdwa v78, v69, v50 dst_sel:DWORD dst_unused:UNUSED_PAD src0_sel:WORD_1 src1_sel:DWORD
	v_lshrrev_b32_e32 v76, 16, v64
	v_mul_f16_e32 v111, 0xb836, v68
	v_mul_f16_e32 v133, 0xb1e1, v69
	v_mul_f16_sdwa v134, v69, v56 dst_sel:DWORD dst_unused:UNUSED_PAD src0_sel:WORD_1 src1_sel:DWORD
	v_mul_f16_e32 v135, 0x3bf7, v69
	v_pk_mul_f16 v121, 0xb8d2, v65 op_sel_hi:[0,1]
	v_add_f16_e32 v141, v142, v141
	v_mul_f16_sdwa v100, v72, v54 dst_sel:DWORD dst_unused:UNUSED_PAD src0_sel:WORD_1 src1_sel:DWORD
	v_add_f16_e32 v93, v98, v93
	v_mul_f16_sdwa v98, v72, v42 dst_sel:DWORD dst_unused:UNUSED_PAD src0_sel:WORD_1 src1_sel:DWORD
	v_pk_fma_f16 v165, 0x3964, v72, v139 op_sel:[0,0,1] op_sel_hi:[0,1,0] neg_lo:[0,1,0] neg_hi:[0,1,0]
	v_pk_fma_f16 v139, 0x3964, v72, v139 op_sel:[0,0,1] op_sel_hi:[0,1,0]
	v_pk_fma_f16 v166, 0xb1e1bbf7, v72, v164 op_sel:[0,0,1] op_sel_hi:[1,1,0] neg_lo:[0,1,0] neg_hi:[0,1,0]
	v_pk_fma_f16 v164, 0xb1e1bbf7, v72, v164 op_sel:[0,0,1] op_sel_hi:[1,1,0]
	v_mul_f16_e32 v72, 0xb1e1, v72
	v_pk_mul_f16 v176, 0xb461bacd, v65
	v_pk_add_f16 v180, v182, v180
	v_pk_add_f16 v138, v140, v138
	v_add_f16_e32 v122, v127, v122
	v_add_f16_e32 v185, v188, v185
	;; [unrolled: 1-line block ×4, first 2 shown]
	v_pk_add_f16 v88, v89, v88
	v_fma_f16 v94, v66, 0xb461, -v79
	v_add_f16_e32 v159, v159, v172
	v_fma_f16 v172, v65, 0x3722, -v108
	v_add_f16_e32 v168, v168, v174
	v_fmamk_f16 v174, v80, 0x3722, v109
	v_fma_f16 v131, v82, 0xbacd, -v131
	v_add_f16_e32 v120, v130, v120
	v_fma_f16 v130, v82, 0xb8d2, -v101
	v_fmac_f16_e32 v128, 0x3722, v66
	v_fma_f16 v129, v82, 0x3722, -v129
	v_add_f16_e32 v96, v107, v96
	v_bfi_b32 v107, 0xffff, v90, v151
	v_add_f16_e32 v86, v183, v86
	v_fma_f16 v183, v65, 0xbbdd, -v132
	v_fma_f16 v109, v80, 0x3722, -v109
	v_pk_add_f16 v62, v26, v24 neg_lo:[0,1] neg_hi:[0,1]
	v_pk_add_f16 v60, v24, v26
	v_pk_add_f16 v26, v28, v26
	v_mul_f16_sdwa v74, v68, v49 dst_sel:DWORD dst_unused:UNUSED_PAD src0_sel:WORD_1 src1_sel:DWORD
	v_mul_f16_e32 v77, 0xb5c8, v68
	v_mul_f16_sdwa v110, v68, v47 dst_sel:DWORD dst_unused:UNUSED_PAD src0_sel:WORD_1 src1_sel:DWORD
	v_mul_f16_sdwa v136, v68, v56 dst_sel:DWORD dst_unused:UNUSED_PAD src0_sel:WORD_1 src1_sel:DWORD
	v_mul_f16_e32 v160, 0xb964, v68
	v_pk_mul_f16 v123, 0x3722, v64 op_sel_hi:[0,1]
	v_mul_f16_sdwa v117, v69, v49 dst_sel:DWORD dst_unused:UNUSED_PAD src0_sel:WORD_1 src1_sel:DWORD
	v_mul_f16_e32 v119, 0xb5c8, v69
	v_mul_f16_sdwa v167, v69, v52 dst_sel:DWORD dst_unused:UNUSED_PAD src0_sel:WORD_1 src1_sel:DWORD
	v_pk_fma_f16 v177, 0xba62, v69, v121 op_sel:[0,0,1] op_sel_hi:[0,1,0] neg_lo:[0,1,0] neg_hi:[0,1,0]
	v_pk_fma_f16 v121, 0xba62, v69, v121 op_sel:[0,0,1] op_sel_hi:[0,1,0]
	v_pk_fma_f16 v178, 0x3836bbb2, v69, v176 op_sel:[0,0,1] op_sel_hi:[1,1,0] neg_lo:[0,1,0] neg_hi:[0,1,0]
	v_pk_fma_f16 v176, 0x3836bbb2, v69, v176 op_sel:[0,0,1] op_sel_hi:[1,1,0]
	v_mul_f16_e32 v69, 0x3836, v69
	v_pk_mul_f16 v182, 0xb8d2b461, v64
	v_add_f16_e32 v141, v145, v141
	v_add_f16_e32 v94, v94, v156
	v_fma_f16 v156, v65, 0x39e9, -v78
	v_pk_add_f16 v165, v165, v180
	v_pk_add_f16 v138, v139, v138
	v_fma_f16 v139, v66, 0xb8d2, -v100
	v_fmac_f16_e32 v100, 0xb8d2, v66
	v_add_f16_e32 v122, v131, v122
	v_add_f16_e32 v130, v130, v185
	v_fmamk_f16 v185, v76, 0xbacd, v111
	v_add_f16_e32 v116, v128, v116
	v_fma_f16 v128, v66, 0x2de8, -v98
	v_add_f16_e32 v118, v129, v118
	v_fmamk_f16 v129, v82, 0xbbdd, v72
	v_pk_add_f16 v88, v107, v88
	v_fmamk_f16 v101, v82, 0xb8d2, v101
	v_add_f16_e32 v158, v172, v158
	v_fmamk_f16 v172, v80, 0xbbdd, v133
	v_add_f16_e32 v146, v174, v146
	v_fma_f16 v174, v65, 0x2de8, -v134
	v_add_f16_e32 v157, v183, v157
	v_fmamk_f16 v183, v80, 0x2de8, v135
	v_fmac_f16_e32 v134, 0x2de8, v65
	v_fma_f16 v135, v80, 0x2de8, -v135
	v_fmac_f16_e32 v132, 0xbbdd, v65
	v_fma_f16 v133, v80, 0xbbdd, -v133
	v_add_f16_e32 v96, v109, v96
	v_bfi_b32 v109, 0xffff, v164, v166
	v_fma_f16 v111, v76, 0xbacd, -v111
	v_mul_f16_e32 v137, 0x3bf7, v68
	v_fma_f16 v155, v102, 0xb8d2, -v155
	v_fma_f16 v102, v102, 0xbbdd, -v103
	v_mul_f16_sdwa v103, v68, v53 dst_sel:DWORD dst_unused:UNUSED_PAD src0_sel:WORD_1 src1_sel:DWORD
	v_fmac_f16_e32 v106, 0x3b76, v66
	v_pk_add_f16 v24, v26, v24
	v_mul_f16_sdwa v70, v67, v42 dst_sel:DWORD dst_unused:UNUSED_PAD src0_sel:WORD_1 src1_sel:DWORD
	v_lshrrev_b32_e32 v73, 16, v61
	v_mul_f16_e32 v75, 0xbbf7, v67
	v_mul_f16_sdwa v112, v67, v54 dst_sel:DWORD dst_unused:UNUSED_PAD src0_sel:WORD_1 src1_sel:DWORD
	v_mul_f16_e32 v113, 0x3a62, v67
	v_lshrrev_b32_e32 v71, 16, v60
	v_pk_mul_f16 v142, 0xb461, v61 op_sel_hi:[0,1]
	v_mul_f16_sdwa v154, v68, v45 dst_sel:DWORD dst_unused:UNUSED_PAD src0_sel:WORD_1 src1_sel:DWORD
	v_mul_f16_e32 v87, 0xb1e1, v68
	v_mul_f16_sdwa v179, v68, v43 dst_sel:DWORD dst_unused:UNUSED_PAD src0_sel:WORD_1 src1_sel:DWORD
	v_pk_fma_f16 v140, 0x3b29, v68, v123 op_sel:[0,0,1] op_sel_hi:[0,1,0] neg_lo:[0,1,0] neg_hi:[0,1,0]
	v_pk_fma_f16 v123, 0x3b29, v68, v123 op_sel:[0,0,1] op_sel_hi:[0,1,0]
	v_pk_fma_f16 v126, 0x3bb2ba62, v68, v182 op_sel:[0,0,1] op_sel_hi:[1,1,0] neg_lo:[0,1,0] neg_hi:[0,1,0]
	v_pk_fma_f16 v182, 0x3bb2ba62, v68, v182 op_sel:[0,0,1] op_sel_hi:[1,1,0]
	v_mul_f16_e32 v68, 0x3bb2, v68
	v_pk_mul_f16 v145, 0xbacd3722, v61
	v_fma_f16 v180, v64, 0x3b76, -v74
	v_fmamk_f16 v131, v76, 0x3b76, v77
	v_add_f16_e32 v100, v100, v141
	v_fma_f16 v141, v64, 0xbacd, -v110
	v_add_f16_e32 v91, v128, v91
	v_add_f16_e32 v85, v129, v85
	;; [unrolled: 1-line block ×6, first 2 shown]
	v_fma_f16 v174, v64, 0x2de8, -v136
	v_add_f16_e32 v168, v183, v168
	v_pk_add_f16 v165, v177, v165
	v_pk_add_f16 v121, v121, v138
	v_fma_f16 v138, v65, 0x3b76, -v117
	v_fmac_f16_e32 v117, 0x3b76, v65
	v_add_f16_e32 v120, v134, v120
	v_fma_f16 v134, v80, 0x3b76, -v119
	v_add_f16_e32 v122, v135, v122
	v_fmamk_f16 v135, v76, 0x39e9, v160
	v_add_f16_e32 v116, v132, v116
	v_fma_f16 v132, v65, 0xb461, -v167
	v_add_f16_e32 v118, v133, v118
	v_fmamk_f16 v133, v80, 0xbacd, v69
	v_pk_add_f16 v88, v109, v88
	v_fmamk_f16 v119, v80, 0x3b76, v119
	v_fmac_f16_e32 v136, 0x2de8, v64
	v_add_f16_e32 v96, v111, v96
	v_bfi_b32 v111, 0xffff, v176, v178
	v_mul_f16_sdwa v161, v67, v49 dst_sel:DWORD dst_unused:UNUSED_PAD src0_sel:WORD_1 src1_sel:DWORD
	v_mul_f16_e32 v162, 0xb5c8, v67
	v_mul_f16_sdwa v163, v67, v45 dst_sel:DWORD dst_unused:UNUSED_PAD src0_sel:WORD_1 src1_sel:DWORD
	v_mul_f16_e32 v169, 0xb1e1, v67
	v_add_f16_e32 v95, v106, v95
	v_add_f16_e32 v170, v172, v170
	v_fmamk_f16 v183, v76, 0x2de8, v137
	v_fma_f16 v177, v64, 0x39e9, -v103
	v_fmac_f16_e32 v108, 0x3722, v65
	v_pk_add_f16 v22, v24, v22
	v_mul_f16_sdwa v8, v62, v47 dst_sel:DWORD dst_unused:UNUSED_PAD src0_sel:WORD_1 src1_sel:DWORD
	v_mul_f16_sdwa v114, v62, v50 dst_sel:DWORD dst_unused:UNUSED_PAD src0_sel:WORD_1 src1_sel:DWORD
	v_mul_f16_e32 v115, 0x3964, v62
	v_mul_f16_sdwa v184, v67, v50 dst_sel:DWORD dst_unused:UNUSED_PAD src0_sel:WORD_1 src1_sel:DWORD
	v_mul_f16_e32 v144, 0x3964, v67
	v_mul_f16_sdwa v127, v67, v47 dst_sel:DWORD dst_unused:UNUSED_PAD src0_sel:WORD_1 src1_sel:DWORD
	v_pk_fma_f16 v188, 0xbbb2, v67, v142 op_sel:[0,0,1] op_sel_hi:[0,1,0] neg_lo:[0,1,0] neg_hi:[0,1,0]
	v_pk_fma_f16 v142, 0xbbb2, v67, v142 op_sel:[0,0,1] op_sel_hi:[0,1,0]
	v_pk_fma_f16 v105, 0x3b29b836, v67, v145 op_sel:[0,0,1] op_sel_hi:[1,1,0] neg_lo:[0,1,0] neg_hi:[0,1,0]
	v_pk_fma_f16 v145, 0x3b29b836, v67, v145 op_sel:[0,0,1] op_sel_hi:[1,1,0]
	v_mul_f16_e32 v67, 0x3b29, v67
	v_pk_mul_f16 v125, 0xbbdd3b76, v60
	v_fma_f16 v106, v61, 0x2de8, -v70
	v_fmamk_f16 v107, v73, 0x2de8, v75
	v_fma_f16 v128, v61, 0xb8d2, -v112
	v_fmamk_f16 v129, v73, 0xb8d2, v113
	v_mul_f16_e32 v172, 0xbacd, v71
	v_add_f16_e32 v100, v117, v100
	v_add_f16_e32 v130, v134, v130
	;; [unrolled: 1-line block ×7, first 2 shown]
	v_fmac_f16_e32 v103, 0x39e9, v64
	v_add_f16_e32 v86, v131, v86
	v_fma_f16 v131, v64, 0xbbdd, -v154
	v_fmac_f16_e32 v154, 0xbbdd, v64
	v_add_f16_e32 v141, v141, v158
	v_fma_f16 v158, v76, 0xbbdd, -v87
	v_add_f16_e32 v146, v185, v146
	v_add_f16_e32 v135, v135, v168
	v_fma_f16 v168, v64, 0xb8d2, -v179
	v_pk_add_f16 v140, v140, v165
	v_fmamk_f16 v165, v76, 0xb461, v68
	v_fmamk_f16 v87, v76, 0xbbdd, v87
	v_add_f16_e32 v32, v136, v116
	v_bfi_b32 v136, 0xffff, v182, v126
	v_pk_add_f16 v30, v111, v88
	v_mul_f16_sdwa v171, v62, v43 dst_sel:DWORD dst_unused:UNUSED_PAD src0_sel:WORD_1 src1_sel:DWORD
	v_mul_f16_sdwa v173, v62, v57 dst_sel:DWORD dst_unused:UNUSED_PAD src0_sel:WORD_1 src1_sel:DWORD
	v_mul_f16_e32 v175, 0x3b29, v62
	v_mul_f16_e32 v181, 0xba62, v62
	v_fma_f16 v117, v61, 0x3b76, -v161
	v_fmamk_f16 v134, v73, 0x3b76, v162
	v_add_f16_e32 v95, v108, v95
	v_fma_f16 v108, v61, 0xbbdd, -v163
	v_fmamk_f16 v109, v73, 0xbbdd, v169
	v_add_f16_e32 v157, v174, v157
	v_add_f16_e32 v170, v183, v170
	;; [unrolled: 1-line block ×3, first 2 shown]
	v_pk_mul_f16 v186, 0x2de8, v60 op_sel_hi:[0,1]
	v_add_f16_e32 v147, v63, v147
	v_pk_add_f16 v121, v123, v121
	v_pk_add_f16 v20, v22, v20
	v_mul_f16_e32 v124, 0x35c8, v62
	v_mul_f16_sdwa v89, v62, v45 dst_sel:DWORD dst_unused:UNUSED_PAD src0_sel:WORD_1 src1_sel:DWORD
	v_fma_f16 v139, v60, 0xbacd, -v8
	v_fma_f16 v143, v60, 0x39e9, -v114
	v_fmamk_f16 v156, v71, 0x39e9, v115
	v_fma_f16 v160, v76, 0x39e9, -v160
	v_fmac_f16_e32 v110, 0xbacd, v64
	v_fma_f16 v123, v61, 0xbacd, -v127
	v_add_f16_e32 v103, v103, v120
	v_fmamk_f16 v120, v73, 0x3722, v67
	v_add_f16_e32 v100, v154, v100
	v_pk_fma_f16 v154, 0x35c8b1e1, v62, v125 op_sel:[0,0,1] op_sel_hi:[1,1,0] neg_lo:[0,1,0] neg_hi:[0,1,0]
	v_add_f16_e32 v36, v158, v130
	v_pk_fma_f16 v130, 0x35c8b1e1, v62, v125 op_sel:[0,0,1] op_sel_hi:[1,1,0]
	v_fmamk_f16 v34, v73, 0x39e9, v144
	v_fmamk_f16 v116, v62, 0xb836, v172
	v_bfi_b32 v88, 0xffff, v145, v105
	v_add_f16_e32 v28, v168, v91
	v_add_f16_e32 v85, v165, v85
	;; [unrolled: 1-line block ×8, first 2 shown]
	v_pk_add_f16 v30, v136, v30
	v_fma_f16 v132, v60, 0xb8d2, -v171
	v_fma_f16 v133, v60, 0x3722, -v173
	v_fmamk_f16 v138, v71, 0x3722, v175
	v_fmamk_f16 v119, v71, 0xb8d2, v181
	v_add_f16_e32 v101, v117, v157
	v_add_f16_e32 v106, v134, v170
	;; [unrolled: 1-line block ×5, first 2 shown]
	v_mul_f16_sdwa v148, v62, v52 dst_sel:DWORD dst_unused:UNUSED_PAD src0_sel:WORD_1 src1_sel:DWORD
	v_pk_fma_f16 v180, 0x3bf7, v62, v186 op_sel:[0,0,1] op_sel_hi:[0,1,0] neg_lo:[0,1,0] neg_hi:[0,1,0]
	v_pk_fma_f16 v186, 0x3bf7, v62, v186 op_sel:[0,0,1] op_sel_hi:[0,1,0]
	v_fma_f16 v185, v61, 0x39e9, -v184
	v_pk_add_f16 v109, v188, v140
	v_pk_add_f16 v117, v142, v121
	v_pk_add_f16 v18, v20, v18
	v_add_f16_sdwa v150, v63, v150 dst_sel:DWORD dst_unused:UNUSED_PAD src0_sel:WORD_1 src1_sel:DWORD
	v_add_f16_e32 v38, v160, v122
	v_fmamk_f16 v122, v71, 0x3b76, v124
	v_add_f16_e32 v95, v110, v95
	v_fma_f16 v110, v60, 0xbbdd, -v89
	v_bfi_b32 v111, 0xffff, v130, v154
	v_add_f16_e32 v28, v123, v28
	v_add_f16_e32 v85, v120, v85
	;; [unrolled: 1-line block ×7, first 2 shown]
	v_pk_add_f16 v30, v88, v30
	v_add_f16_e32 v94, v132, v101
	v_add_f16_e32 v99, v133, v107
	;; [unrolled: 1-line block ×4, first 2 shown]
	v_fma_f16 v183, v60, 0xb461, -v148
	v_add_f16_e32 v91, v185, v91
	v_pk_add_f16 v107, v180, v109
	v_pk_add_f16 v108, v186, v117
	;; [unrolled: 1-line block ×3, first 2 shown]
	v_add_f16_e32 v150, v152, v150
	v_add_f16_e32 v85, v122, v85
	;; [unrolled: 1-line block ×3, first 2 shown]
	v_pack_b32_f16 v22, v26, v87
	v_pack_b32_f16 v24, v24, v86
	v_pk_add_f16 v18, v111, v30
	v_fma_f16 v137, v76, 0x2de8, -v137
	v_pack_b32_f16 v26, v99, v101
	v_pack_b32_f16 v86, v94, v106
	v_add_f16_e32 v88, v183, v91
	v_alignbit_b32 v87, v107, v108, 16
	v_alignbit_b32 v91, v108, v107, 16
	v_add_f16_sdwa v92, v63, v92 dst_sel:DWORD dst_unused:UNUSED_PAD src0_sel:WORD_1 src1_sel:DWORD
	v_pk_add_f16 v14, v16, v14
	v_mul_f16_e32 v152, 0xbbb2, v62
	v_fmac_f16_e32 v163, 0xbbdd, v61
	v_fma_f16 v169, v73, 0xbbdd, -v169
	v_fmac_f16_e32 v184, 0x39e9, v61
	v_fma_f16 v174, v73, 0x39e9, -v144
	ds_write2_b32 v59, v24, v22 offset0:3 offset1:4
	ds_write2_b32 v59, v86, v26 offset0:5 offset1:6
	;; [unrolled: 1-line block ×3, first 2 shown]
	v_alignbit_b32 v16, v85, v18, 16
	v_pack_b32_f16 v18, v28, v18
	v_add_f16_e32 v24, v155, v150
	v_fma_f16 v28, v82, 0xbbdd, -v72
	v_fmac_f16_e32 v112, 0xb8d2, v61
	v_fma_f16 v113, v73, 0xb8d2, -v113
	v_fmac_f16_e32 v161, 0x3b76, v61
	v_fma_f16 v162, v73, 0x3b76, -v162
	v_add_f16_e32 v118, v137, v118
	v_pk_add_f16 v12, v14, v12
	v_add_f16_e32 v14, v97, v92
	v_fmac_f16_e32 v173, 0x3722, v60
	v_fma_f16 v175, v71, 0x3722, -v175
	v_fmac_f16_e32 v148, 0xb461, v60
	v_fma_f16 v177, v71, 0xb461, -v152
	v_add_f16_e32 v103, v163, v103
	v_add_f16_e32 v38, v169, v38
	;; [unrolled: 1-line block ×5, first 2 shown]
	v_fma_f16 v28, v80, 0xbacd, -v69
	v_fmac_f16_e32 v114, 0x39e9, v60
	v_fma_f16 v115, v71, 0x39e9, -v115
	v_fmac_f16_e32 v171, 0xb8d2, v60
	v_fma_f16 v181, v71, 0xb8d2, -v181
	v_add_f16_e32 v95, v112, v95
	v_add_f16_e32 v96, v113, v96
	;; [unrolled: 1-line block ×4, first 2 shown]
	v_pk_add_f16 v22, v90, v104
	v_add_f16_e32 v14, v102, v14
	v_fma_f16 v30, v82, 0xb461, -v83
	v_add_f16_e32 v103, v173, v103
	v_add_f16_e32 v38, v175, v38
	;; [unrolled: 1-line block ×5, first 2 shown]
	v_add_f16_sdwa v28, v63, v189 dst_sel:DWORD dst_unused:UNUSED_PAD src0_sel:WORD_1 src1_sel:DWORD
	v_add_f16_e32 v95, v114, v95
	v_add_f16_e32 v96, v115, v96
	;; [unrolled: 1-line block ×4, first 2 shown]
	v_pk_add_f16 v22, v164, v22
	v_add_f16_e32 v14, v30, v14
	v_fma_f16 v30, v80, 0x39e9, -v81
	v_pack_b32_f16 v20, v103, v38
	v_pack_b32_f16 v36, v100, v36
	v_add_f16_e32 v28, v149, v28
	v_pack_b32_f16 v38, v95, v96
	v_pack_b32_f16 v32, v32, v109
	v_add_f16_e32 v26, v84, v93
	v_fmac_f16_e32 v79, 0xb461, v66
	v_pk_add_f16 v22, v176, v22
	v_add_f16_e32 v14, v30, v14
	v_fma_f16 v30, v76, 0xb461, -v68
	ds_write2_b32 v59, v36, v20 offset0:10 offset1:11
	ds_write2_b32 v59, v32, v38 offset0:12 offset1:13
	v_add_f16_e32 v20, v153, v147
	v_fmac_f16_e32 v98, 0x2de8, v66
	v_add_f16_e32 v28, v151, v28
	v_add_f16_e32 v26, v79, v26
	v_fmac_f16_e32 v78, 0x39e9, v65
	v_fma_f16 v32, v76, 0x3b76, -v77
	v_pk_add_f16 v22, v182, v22
	v_add_f16_e32 v24, v30, v24
	v_fma_f16 v30, v73, 0x3722, -v67
	v_mul_f16_e32 v36, 0xb836, v62
	v_add_f16_e32 v20, v98, v20
	v_fmac_f16_e32 v167, 0xb461, v65
	v_add_f16_e32 v28, v166, v28
	v_add_f16_e32 v26, v78, v26
	v_fmac_f16_e32 v74, 0x3b76, v64
	v_add_f16_e32 v14, v32, v14
	v_fma_f16 v32, v73, 0x2de8, -v75
	v_add_f16_e32 v24, v30, v24
	v_pk_mul_f16 v30, 0x35c8b1e1, v62
	v_bfi_b32 v36, 0xffff, v36, v22
	v_add_f16_e32 v20, v167, v20
	v_fmac_f16_e32 v179, 0xb8d2, v64
	v_add_f16_e32 v28, v178, v28
	v_add_f16_e32 v26, v74, v26
	v_fmac_f16_e32 v70, 0x2de8, v61
	v_pack_b32_f16 v32, v32, v125
	v_bfi_b32 v14, 0xffff, v14, v30
	v_pk_add_f16 v30, v172, v36 neg_lo:[0,1] neg_hi:[0,1]
	v_pk_add_f16 v22, v145, v22
	v_add_f16_e32 v20, v179, v20
	v_fmac_f16_e32 v127, 0xbacd, v61
	v_add_f16_e32 v28, v126, v28
	v_fmamk_f16 v144, v71, 0xb461, v152
	v_add_f16_e32 v26, v70, v26
	v_fma_f16 v36, v71, 0x3b76, -v124
	v_pk_add_f16 v14, v32, v14
	v_bfi_b32 v22, 0xffff, v30, v22
	v_fmac_f16_e32 v8, 0xbacd, v60
	v_add_f16_e32 v20, v127, v20
	v_fmac_f16_e32 v89, 0xbbdd, v60
	v_add_f16_e32 v28, v105, v28
	v_add_f16_e32 v34, v144, v34
	;; [unrolled: 1-line block ×3, first 2 shown]
	v_pk_add_f16 v14, v22, v14
	v_add_f16_e32 v8, v8, v26
	v_add_f16_e32 v20, v89, v20
	;; [unrolled: 1-line block ×3, first 2 shown]
	v_pack_b32_f16 v26, v88, v34
	v_pk_add_f16 v10, v12, v10
	v_alignbit_b32 v12, v24, v14, 16
	v_pack_b32_f16 v8, v8, v14
	v_pack_b32_f16 v14, v20, v22
	ds_write2_b32 v59, v18, v16 offset0:1 offset1:2
	ds_write2_b32 v59, v10, v26 offset1:7
	ds_write2_b32 v59, v8, v12 offset0:14 offset1:15
	ds_write_b32 v59, v14 offset:64
	v_cmpx_gt_u32_e32 7, v3
	s_cbranch_execz .LBB0_20
; %bb.19:
	v_pk_add_f16 v8, v7, v37
	v_pk_add_f16 v20, v31, v13 neg_lo:[0,1] neg_hi:[0,1]
	v_pk_add_f16 v30, v13, v31
	v_pk_add_f16 v16, v29, v15 neg_lo:[0,1] neg_hi:[0,1]
	v_pk_add_f16 v26, v15, v29
	v_pk_add_f16 v8, v8, v35
	v_pk_add_f16 v12, v27, v17 neg_lo:[0,1] neg_hi:[0,1]
	v_pk_add_f16 v22, v17, v27
	v_pk_add_f16 v32, v37, v58 neg_lo:[0,1] neg_hi:[0,1]
	v_pk_add_f16 v37, v58, v37
	v_pk_add_f16 v8, v8, v33
	v_pk_add_f16 v28, v35, v9 neg_lo:[0,1] neg_hi:[0,1]
	v_pk_add_f16 v36, v9, v35
	v_mul_f16_e32 v129, 0xb836, v32
	v_lshrrev_b32_e32 v35, 16, v37
	v_pk_add_f16 v31, v8, v31
	v_pk_add_f16 v24, v33, v11 neg_lo:[0,1] neg_hi:[0,1]
	v_pk_add_f16 v34, v11, v33
	v_mul_f16_e32 v114, 0x3b29, v28
	v_lshrrev_b32_e32 v33, 16, v36
	v_pk_add_f16 v29, v31, v29
	v_fmamk_f16 v59, v35, 0xbacd, v129
	v_pk_add_f16 v10, v25, v19 neg_lo:[0,1] neg_hi:[0,1]
	v_pk_add_f16 v18, v19, v25
	v_mul_f16_e32 v106, 0xbbf7, v24
	v_pk_add_f16 v27, v29, v27
	v_lshrrev_b32_e32 v31, 16, v34
	v_fmamk_f16 v61, v33, 0x3722, v114
	v_add_f16_sdwa v59, v7, v59 dst_sel:DWORD dst_unused:UNUSED_PAD src0_sel:WORD_1 src1_sel:DWORD
	v_mul_f16_e32 v103, 0x3a62, v20
	v_pk_add_f16 v38, v27, v25
	v_lshrrev_b32_e32 v29, 16, v30
	v_mul_f16_sdwa v71, v32, v47 dst_sel:DWORD dst_unused:UNUSED_PAD src0_sel:WORD_1 src1_sel:DWORD
	v_add_f16_e32 v61, v61, v59
	v_mul_f16_e32 v90, 0xb5c8, v16
	v_pk_add_f16 v38, v38, v23
	v_lshrrev_b32_e32 v27, 16, v26
	v_mul_f16_sdwa v63, v28, v57 dst_sel:DWORD dst_unused:UNUSED_PAD src0_sel:WORD_1 src1_sel:DWORD
	v_fma_f16 v62, v37, 0xbacd, -v71
	v_mul_f16_e32 v80, 0xb1e1, v12
	v_pk_add_f16 v38, v38, v21
	v_lshrrev_b32_e32 v25, 16, v22
	v_mul_f16_sdwa v60, v24, v42 dst_sel:DWORD dst_unused:UNUSED_PAD src0_sel:WORD_1 src1_sel:DWORD
	v_add_f16_e32 v62, v7, v62
	v_pk_add_f16 v8, v23, v21 neg_lo:[0,1] neg_hi:[0,1]
	v_pk_add_f16 v19, v38, v19
	v_fmamk_f16 v38, v31, 0x2de8, v106
	v_pk_add_f16 v14, v21, v23
	v_mul_f16_e32 v70, 0x3964, v10
	v_lshrrev_b32_e32 v23, 16, v18
	v_pk_add_f16 v17, v19, v17
	v_fmamk_f16 v19, v29, 0xb8d2, v103
	v_add_f16_e32 v38, v38, v61
	v_fma_f16 v61, v36, 0x3722, -v63
	v_mul_f16_sdwa v59, v20, v54 dst_sel:DWORD dst_unused:UNUSED_PAD src0_sel:WORD_1 src1_sel:DWORD
	v_pk_add_f16 v15, v17, v15
	v_fmamk_f16 v17, v27, 0x3b76, v90
	v_add_f16_e32 v19, v19, v38
	v_fma_f16 v38, v34, 0x2de8, -v60
	v_add_f16_e32 v61, v61, v62
	v_pk_add_f16 v13, v15, v13
	v_fmamk_f16 v15, v25, 0xbbdd, v80
	v_add_f16_e32 v17, v17, v19
	v_fma_f16 v19, v30, 0xb8d2, -v59
	v_add_f16_e32 v38, v38, v61
	v_pk_add_f16 v11, v13, v11
	v_fmamk_f16 v13, v23, 0x39e9, v70
	v_add_f16_e32 v15, v15, v17
	v_mul_f16_sdwa v61, v16, v49 dst_sel:DWORD dst_unused:UNUSED_PAD src0_sel:WORD_1 src1_sel:DWORD
	v_mul_f16_e32 v105, 0xba62, v32
	v_pk_add_f16 v9, v11, v9
	v_mul_f16_e32 v65, 0xbbb2, v8
	v_lshrrev_b32_e32 v21, 16, v14
	v_add_f16_e32 v11, v19, v38
	v_add_f16_e32 v13, v13, v15
	v_pk_add_f16 v9, v9, v58
	v_fma_f16 v15, v26, 0x3b76, -v61
	v_mul_f16_sdwa v58, v12, v45 dst_sel:DWORD dst_unused:UNUSED_PAD src0_sel:WORD_1 src1_sel:DWORD
	v_fmamk_f16 v19, v35, 0xb8d2, v105
	v_mul_f16_e32 v69, 0x3bb2, v28
	v_fmamk_f16 v17, v21, 0xb461, v65
	v_add_f16_e32 v11, v15, v11
	v_fma_f16 v15, v22, 0xbbdd, -v58
	v_add_f16_sdwa v19, v7, v19 dst_sel:DWORD dst_unused:UNUSED_PAD src0_sel:WORD_1 src1_sel:DWORD
	v_fmamk_f16 v38, v33, 0xb461, v69
	v_mul_f16_e32 v67, 0xb5c8, v24
	v_mul_f16_sdwa v62, v10, v50 dst_sel:DWORD dst_unused:UNUSED_PAD src0_sel:WORD_1 src1_sel:DWORD
	v_add_f16_e32 v15, v15, v11
	v_add_f16_e32 v11, v17, v13
	;; [unrolled: 1-line block ×3, first 2 shown]
	v_fmamk_f16 v17, v31, 0x3b76, v67
	v_mul_f16_e32 v68, 0xb836, v20
	v_mul_f16_sdwa v91, v32, v43 dst_sel:DWORD dst_unused:UNUSED_PAD src0_sel:WORD_1 src1_sel:DWORD
	v_fma_f16 v64, v18, 0x39e9, -v62
	v_mul_f16_e32 v73, 0x3bf7, v16
	v_add_f16_e32 v13, v17, v13
	v_fmamk_f16 v17, v29, 0xbacd, v68
	v_fma_f16 v38, v37, 0xb8d2, -v91
	v_mul_f16_sdwa v92, v28, v46 dst_sel:DWORD dst_unused:UNUSED_PAD src0_sel:WORD_1 src1_sel:DWORD
	v_add_f16_e32 v15, v64, v15
	v_mul_f16_sdwa v64, v8, v52 dst_sel:DWORD dst_unused:UNUSED_PAD src0_sel:WORD_1 src1_sel:DWORD
	v_add_f16_e32 v13, v17, v13
	v_fmamk_f16 v17, v27, 0x2de8, v73
	v_mul_f16_e32 v74, 0xb964, v12
	v_add_f16_e32 v38, v7, v38
	v_fma_f16 v66, v36, 0xb461, -v92
	v_mul_f16_sdwa v93, v24, v49 dst_sel:DWORD dst_unused:UNUSED_PAD src0_sel:WORD_1 src1_sel:DWORD
	v_fma_f16 v19, v14, 0xb461, -v64
	v_add_f16_e32 v13, v17, v13
	v_fmamk_f16 v17, v25, 0x39e9, v74
	v_add_f16_e32 v38, v66, v38
	v_fma_f16 v66, v34, 0x3b76, -v93
	v_mul_f16_sdwa v94, v20, v47 dst_sel:DWORD dst_unused:UNUSED_PAD src0_sel:WORD_1 src1_sel:DWORD
	v_mul_f16_sdwa v95, v16, v56 dst_sel:DWORD dst_unused:UNUSED_PAD src0_sel:WORD_1 src1_sel:DWORD
	v_add_f16_e32 v17, v17, v13
	v_add_f16_e32 v13, v19, v15
	;; [unrolled: 1-line block ×3, first 2 shown]
	v_fma_f16 v19, v30, 0xbacd, -v94
	v_mul_f16_e32 v75, 0xb1e1, v10
	v_mul_f16_e32 v96, 0xbbb2, v32
	v_mul_f16_sdwa v99, v12, v53 dst_sel:DWORD dst_unused:UNUSED_PAD src0_sel:WORD_1 src1_sel:DWORD
	v_mul_f16_e32 v76, 0x3b29, v8
	v_add_f16_e32 v15, v19, v15
	v_fma_f16 v19, v26, 0x2de8, -v95
	v_fmamk_f16 v72, v23, 0xbbdd, v75
	v_fmamk_f16 v66, v35, 0xb461, v96
	v_mul_f16_e32 v98, 0x3836, v28
	v_mul_f16_sdwa v101, v10, v45 dst_sel:DWORD dst_unused:UNUSED_PAD src0_sel:WORD_1 src1_sel:DWORD
	v_add_f16_e32 v15, v19, v15
	v_fma_f16 v19, v22, 0x39e9, -v99
	v_add_f16_e32 v17, v72, v17
	v_fmamk_f16 v38, v21, 0x3722, v76
	v_add_f16_sdwa v66, v7, v66 dst_sel:DWORD dst_unused:UNUSED_PAD src0_sel:WORD_1 src1_sel:DWORD
	v_fmamk_f16 v72, v33, 0xbacd, v98
	v_mul_f16_e32 v78, 0x3964, v24
	v_add_f16_e32 v19, v19, v15
	v_fma_f16 v77, v18, 0xbbdd, -v101
	v_add_f16_e32 v15, v38, v17
	v_add_f16_e32 v17, v72, v66
	v_fmamk_f16 v38, v31, 0x39e9, v78
	v_mul_f16_e32 v66, 0xbb29, v20
	v_add_f16_e32 v19, v77, v19
	v_mul_f16_sdwa v77, v32, v52 dst_sel:DWORD dst_unused:UNUSED_PAD src0_sel:WORD_1 src1_sel:DWORD
	v_mul_f16_sdwa v88, v8, v57 dst_sel:DWORD dst_unused:UNUSED_PAD src0_sel:WORD_1 src1_sel:DWORD
	v_add_f16_e32 v17, v38, v17
	v_fmamk_f16 v38, v29, 0x3722, v66
	v_mul_f16_e32 v57, 0xb1e1, v16
	v_fma_f16 v72, v37, 0xb461, -v77
	v_mul_f16_sdwa v79, v28, v55 dst_sel:DWORD dst_unused:UNUSED_PAD src0_sel:WORD_1 src1_sel:DWORD
	v_mul_f16_e32 v55, 0x3bf7, v12
	v_add_f16_e32 v17, v38, v17
	v_fmamk_f16 v38, v27, 0xbbdd, v57
	v_add_f16_e32 v83, v7, v72
	v_fma_f16 v84, v36, 0xbacd, -v79
	v_mul_f16_sdwa v81, v24, v50 dst_sel:DWORD dst_unused:UNUSED_PAD src0_sel:WORD_1 src1_sel:DWORD
	v_fma_f16 v82, v14, 0x3722, -v88
	v_add_f16_e32 v17, v38, v17
	v_fmamk_f16 v38, v25, 0x2de8, v55
	v_add_f16_e32 v84, v84, v83
	v_fma_f16 v85, v34, 0x39e9, -v81
	v_mul_f16_sdwa v83, v20, v44 dst_sel:DWORD dst_unused:UNUSED_PAD src0_sel:WORD_1 src1_sel:DWORD
	v_mul_f16_e32 v72, 0xb5c8, v10
	v_add_f16_e32 v38, v38, v17
	v_add_f16_e32 v17, v82, v19
	;; [unrolled: 1-line block ×3, first 2 shown]
	v_fma_f16 v84, v30, 0x3722, -v83
	v_mul_f16_sdwa v87, v16, v45 dst_sel:DWORD dst_unused:UNUSED_PAD src0_sel:WORD_1 src1_sel:DWORD
	v_mul_f16_e32 v115, 0xbbf7, v32
	v_fmamk_f16 v86, v23, 0x3b76, v72
	v_mul_f16_e32 v82, 0xba62, v8
	v_add_f16_e32 v19, v84, v19
	v_fma_f16 v84, v26, 0xbbdd, -v87
	v_mul_f16_sdwa v100, v12, v56 dst_sel:DWORD dst_unused:UNUSED_PAD src0_sel:WORD_1 src1_sel:DWORD
	v_fmamk_f16 v85, v35, 0x2de8, v115
	v_mul_f16_e32 v118, 0xb1e1, v28
	v_add_f16_e32 v38, v86, v38
	v_fmamk_f16 v56, v21, 0xb8d2, v82
	v_add_f16_e32 v19, v84, v19
	v_fma_f16 v84, v22, 0x2de8, -v100
	v_mul_f16_sdwa v89, v10, v49 dst_sel:DWORD dst_unused:UNUSED_PAD src0_sel:WORD_1 src1_sel:DWORD
	v_add_f16_sdwa v85, v7, v85 dst_sel:DWORD dst_unused:UNUSED_PAD src0_sel:WORD_1 src1_sel:DWORD
	v_fmamk_f16 v86, v33, 0xbbdd, v118
	v_mul_f16_e32 v119, 0x3bb2, v24
	v_add_f16_e32 v84, v84, v19
	v_fma_f16 v97, v18, 0x3b76, -v89
	v_add_f16_e32 v19, v56, v38
	v_add_f16_e32 v38, v86, v85
	v_fmamk_f16 v56, v31, 0xb461, v119
	v_mul_f16_e32 v121, 0x35c8, v20
	v_mul_f16_sdwa v113, v32, v42 dst_sel:DWORD dst_unused:UNUSED_PAD src0_sel:WORD_1 src1_sel:DWORD
	v_add_f16_e32 v86, v97, v84
	v_mul_f16_e32 v125, 0xbb29, v16
	v_add_f16_e32 v38, v56, v38
	v_fmamk_f16 v84, v29, 0x3b76, v121
	v_fma_f16 v85, v37, 0x2de8, -v113
	v_mul_f16_sdwa v56, v28, v45 dst_sel:DWORD dst_unused:UNUSED_PAD src0_sel:WORD_1 src1_sel:DWORD
	v_mul_f16_sdwa v102, v8, v43 dst_sel:DWORD dst_unused:UNUSED_PAD src0_sel:WORD_1 src1_sel:DWORD
	v_fmamk_f16 v104, v27, 0x3722, v125
	v_add_f16_e32 v38, v84, v38
	v_mul_f16_e32 v126, 0xb836, v12
	v_add_f16_e32 v85, v7, v85
	v_fma_f16 v107, v36, 0xbbdd, -v56
	v_mul_f16_sdwa v84, v24, v46 dst_sel:DWORD dst_unused:UNUSED_PAD src0_sel:WORD_1 src1_sel:DWORD
	v_fma_f16 v97, v14, 0xb8d2, -v102
	v_add_f16_e32 v38, v104, v38
	v_fmamk_f16 v104, v25, 0xbacd, v126
	v_mul_f16_e32 v124, 0x3a62, v10
	v_add_f16_e32 v107, v107, v85
	v_fma_f16 v108, v34, 0xb461, -v84
	v_mul_f16_sdwa v85, v20, v51 dst_sel:DWORD dst_unused:UNUSED_PAD src0_sel:WORD_1 src1_sel:DWORD
	v_mul_f16_e32 v109, 0xbb29, v32
	v_add_f16_e32 v51, v104, v38
	v_fmamk_f16 v104, v23, 0xb8d2, v124
	v_add_f16_e32 v38, v97, v86
	v_add_f16_e32 v97, v108, v107
	v_fma_f16 v107, v30, 0x3b76, -v85
	v_mul_f16_sdwa v86, v16, v44 dst_sel:DWORD dst_unused:UNUSED_PAD src0_sel:WORD_1 src1_sel:DWORD
	v_mul_f16_e32 v127, 0x3964, v8
	v_fmamk_f16 v111, v35, 0x3722, v109
	v_mul_f16_e32 v110, 0xba62, v28
	v_add_f16_e32 v51, v104, v51
	v_add_f16_e32 v104, v107, v97
	v_fma_f16 v107, v26, 0x3722, -v86
	v_mul_f16_sdwa v97, v12, v47 dst_sel:DWORD dst_unused:UNUSED_PAD src0_sel:WORD_1 src1_sel:DWORD
	v_fmamk_f16 v108, v21, 0x39e9, v127
	v_add_f16_sdwa v112, v7, v111 dst_sel:DWORD dst_unused:UNUSED_PAD src0_sel:WORD_1 src1_sel:DWORD
	v_fmamk_f16 v116, v33, 0xb8d2, v110
	v_mul_f16_e32 v111, 0x31e1, v24
	v_add_f16_e32 v104, v107, v104
	v_fma_f16 v107, v22, 0xbacd, -v97
	v_mul_f16_sdwa v54, v10, v54 dst_sel:DWORD dst_unused:UNUSED_PAD src0_sel:WORD_1 src1_sel:DWORD
	v_add_f16_e32 v51, v108, v51
	v_add_f16_e32 v108, v116, v112
	v_fmamk_f16 v116, v31, 0xbbdd, v111
	v_mul_f16_e32 v112, 0x3bb2, v20
	v_mul_f16_sdwa v131, v32, v44 dst_sel:DWORD dst_unused:UNUSED_PAD src0_sel:WORD_1 src1_sel:DWORD
	v_add_f16_e32 v104, v107, v104
	v_fma_f16 v107, v18, 0xb8d2, -v54
	v_add_f16_e32 v108, v116, v108
	v_fmamk_f16 v116, v29, 0xb461, v112
	v_mul_f16_e32 v122, 0x3964, v16
	v_fma_f16 v120, v37, 0x3722, -v131
	v_mul_f16_sdwa v132, v28, v43 dst_sel:DWORD dst_unused:UNUSED_PAD src0_sel:WORD_1 src1_sel:DWORD
	v_add_f16_e32 v107, v107, v104
	v_mul_f16_sdwa v104, v8, v50 dst_sel:DWORD dst_unused:UNUSED_PAD src0_sel:WORD_1 src1_sel:DWORD
	v_add_f16_e32 v108, v116, v108
	v_fmamk_f16 v116, v27, 0x39e9, v122
	v_mul_f16_e32 v123, 0xb5c8, v12
	v_add_f16_e32 v128, v7, v120
	v_fma_f16 v130, v36, 0xb8d2, -v132
	v_mul_f16_sdwa v133, v24, v48 dst_sel:DWORD dst_unused:UNUSED_PAD src0_sel:WORD_1 src1_sel:DWORD
	v_fma_f16 v117, v14, 0x39e9, -v104
	v_add_f16_e32 v48, v116, v108
	v_fmamk_f16 v108, v25, 0x3b76, v123
	v_mul_f16_e32 v120, 0xbbf7, v10
	v_add_f16_e32 v116, v130, v128
	v_fma_f16 v128, v34, 0xbbdd, -v133
	v_mul_f16_sdwa v134, v20, v46 dst_sel:DWORD dst_unused:UNUSED_PAD src0_sel:WORD_1 src1_sel:DWORD
	v_add_f16_e32 v46, v108, v48
	v_fmamk_f16 v108, v23, 0x2de8, v120
	v_add_f16_e32 v48, v117, v107
	v_add_f16_e32 v107, v128, v116
	v_fma_f16 v116, v30, 0xb461, -v134
	v_mul_f16_sdwa v135, v16, v50 dst_sel:DWORD dst_unused:UNUSED_PAD src0_sel:WORD_1 src1_sel:DWORD
	v_add_f16_e32 v50, v108, v46
	v_mul_f16_e32 v130, 0xb964, v32
	v_mul_f16_sdwa v139, v12, v49 dst_sel:DWORD dst_unused:UNUSED_PAD src0_sel:WORD_1 src1_sel:DWORD
	v_add_f16_e32 v107, v116, v107
	v_fma_f16 v108, v26, 0x39e9, -v135
	v_mul_f16_e32 v116, 0xbbf7, v28
	v_fmamk_f16 v117, v35, 0x39e9, v130
	v_mul_f16_sdwa v137, v10, v42 dst_sel:DWORD dst_unused:UNUSED_PAD src0_sel:WORD_1 src1_sel:DWORD
	v_mul_f16_e32 v46, 0xbacd, v21
	v_add_f16_e32 v107, v108, v107
	v_fma_f16 v108, v22, 0x3b76, -v139
	v_add_f16_sdwa v136, v7, v117 dst_sel:DWORD dst_unused:UNUSED_PAD src0_sel:WORD_1 src1_sel:DWORD
	v_fmamk_f16 v138, v33, 0x2de8, v116
	v_mul_f16_e32 v117, 0xba62, v24
	v_pk_mul_f16 v140, 0x3b7639e9, v37
	v_add_f16_e32 v107, v108, v107
	v_fma_f16 v108, v18, 0x2de8, -v137
	v_fmamk_f16 v128, v8, 0xb836, v46
	v_add_f16_e32 v138, v138, v136
	v_fmamk_f16 v142, v31, 0xb8d2, v117
	v_pk_fma_f16 v136, 0xb964b5c8, v32, v140 op_sel:[0,0,1] op_sel_hi:[1,1,0]
	v_add_f16_e32 v157, v108, v107
	v_pk_fma_f16 v141, 0xb964b5c8, v32, v140 op_sel:[0,0,1] op_sel_hi:[1,1,0] neg_lo:[0,1,0] neg_hi:[0,1,0]
	v_pk_mul_f16 v107, 0x39e92de8, v36
	v_add_f16_e32 v50, v128, v50
	v_mul_f16_e32 v128, 0xb1e1, v20
	v_add_f16_e32 v108, v142, v138
	v_bfi_b32 v142, 0xffff, v136, v141
	v_pk_fma_f16 v138, 0xbbf7b964, v28, v107 op_sel:[0,0,1] op_sel_hi:[1,1,0]
	v_pk_fma_f16 v145, 0xbbf7b964, v28, v107 op_sel:[0,0,1] op_sel_hi:[1,1,0] neg_lo:[0,1,0] neg_hi:[0,1,0]
	v_pk_mul_f16 v107, 0x3722b8d2, v34
	v_fmamk_f16 v144, v29, 0xbbdd, v128
	v_pk_add_f16 v146, v7, v142 op_sel:[1,0] op_sel_hi:[0,1]
	v_mul_f16_e32 v143, 0x3836, v16
	v_bfi_b32 v147, 0xffff, v138, v145
	v_pk_fma_f16 v142, 0xba62bb29, v24, v107 op_sel:[0,0,1] op_sel_hi:[1,1,0]
	v_pk_fma_f16 v148, 0xba62bb29, v24, v107 op_sel:[0,0,1] op_sel_hi:[1,1,0] neg_lo:[0,1,0] neg_hi:[0,1,0]
	v_pk_mul_f16 v107, 0x2de8bbdd, v30
	v_add_f16_e32 v108, v144, v108
	v_pk_add_f16 v146, v147, v146
	v_fmamk_f16 v151, v27, 0xbacd, v143
	v_bfi_b32 v147, 0xffff, v142, v148
	v_pk_fma_f16 v144, 0xb1e1bbf7, v20, v107 op_sel:[0,0,1] op_sel_hi:[1,1,0]
	v_pk_fma_f16 v150, 0xb1e1bbf7, v20, v107 op_sel:[0,0,1] op_sel_hi:[1,1,0] neg_lo:[0,1,0] neg_hi:[0,1,0]
	v_pk_mul_f16 v107, 0xb461bacd, v26
	v_mul_f16_e32 v149, 0x3bb2, v12
	v_pk_add_f16 v146, v147, v146
	v_add_f16_e32 v108, v151, v108
	v_bfi_b32 v153, 0xffff, v144, v150
	v_pk_fma_f16 v147, 0x3836bbb2, v16, v107 op_sel:[0,0,1] op_sel_hi:[1,1,0]
	v_pk_fma_f16 v152, 0x3836bbb2, v16, v107 op_sel:[0,0,1] op_sel_hi:[1,1,0] neg_lo:[0,1,0] neg_hi:[0,1,0]
	v_pk_mul_f16 v107, 0xb8d2b461, v22
	v_fmamk_f16 v154, v25, 0xb461, v149
	v_mul_f16_e32 v151, 0x3b29, v10
	v_pk_add_f16 v155, v153, v146
	v_bfi_b32 v156, 0xffff, v147, v152
	v_pk_fma_f16 v146, 0x3bb2ba62, v12, v107 op_sel:[0,0,1] op_sel_hi:[1,1,0]
	v_pk_fma_f16 v153, 0x3bb2ba62, v12, v107 op_sel:[0,0,1] op_sel_hi:[1,1,0] neg_lo:[0,1,0] neg_hi:[0,1,0]
	v_pk_mul_f16 v159, 0xbacd3722, v18
	v_mul_f16_sdwa v140, v8, v47 dst_sel:DWORD dst_unused:UNUSED_PAD src0_sel:WORD_1 src1_sel:DWORD
	v_add_f16_e32 v160, v154, v108
	v_fmamk_f16 v161, v23, 0x3722, v151
	v_pk_add_f16 v156, v156, v155
	v_bfi_b32 v162, 0xffff, v146, v153
	v_pk_fma_f16 v107, 0x3b29b836, v10, v159 op_sel:[0,0,1] op_sel_hi:[1,1,0]
	v_pk_fma_f16 v154, 0x3b29b836, v10, v159 op_sel:[0,0,1] op_sel_hi:[1,1,0] neg_lo:[0,1,0] neg_hi:[0,1,0]
	v_pk_mul_f16 v108, 0xbbdd3b76, v14
	v_fma_f16 v158, v14, 0xbacd, -v140
	v_add_f16_e32 v159, v161, v160
	v_pk_add_f16 v160, v162, v156
	v_bfi_b32 v161, 0xffff, v107, v154
	v_pk_fma_f16 v162, 0x35c8b1e1, v8, v108 op_sel:[0,0,1] op_sel_hi:[1,1,0]
	v_pk_fma_f16 v156, 0x35c8b1e1, v8, v108 op_sel:[0,0,1] op_sel_hi:[1,1,0] neg_lo:[0,1,0] neg_hi:[0,1,0]
	v_mul_f16_sdwa v163, v32, v49 dst_sel:DWORD dst_unused:UNUSED_PAD src0_sel:WORD_1 src1_sel:DWORD
	v_add_f16_e32 v49, v158, v157
	v_pk_add_f16 v157, v161, v160
	v_mul_f16_sdwa v53, v28, v53 dst_sel:DWORD dst_unused:UNUSED_PAD src0_sel:WORD_1 src1_sel:DWORD
	v_bfi_b32 v158, 0xffff, v162, v156
	v_fma_f16 v160, v37, 0x3b76, -v163
	v_fma_f16 v129, v35, 0xbacd, -v129
	v_mul_f16_sdwa v44, v24, v44 dst_sel:DWORD dst_unused:UNUSED_PAD src0_sel:WORD_1 src1_sel:DWORD
	v_fma_f16 v114, v33, 0x3722, -v114
	v_pk_add_f16 v157, v158, v157
	v_add_f16_e32 v158, v7, v160
	v_fma_f16 v160, v36, 0x39e9, -v53
	v_add_f16_sdwa v129, v7, v129 dst_sel:DWORD dst_unused:UNUSED_PAD src0_sel:WORD_1 src1_sel:DWORD
	v_mul_f16_sdwa v162, v20, v42 dst_sel:DWORD dst_unused:UNUSED_PAD src0_sel:WORD_1 src1_sel:DWORD
	v_fma_f16 v106, v31, 0x2de8, -v106
	v_mul_f16_sdwa v52, v16, v52 dst_sel:DWORD dst_unused:UNUSED_PAD src0_sel:WORD_1 src1_sel:DWORD
	v_add_f16_e32 v158, v160, v158
	v_fma_f16 v160, v34, 0x3722, -v44
	v_add_f16_e32 v114, v114, v129
	v_fma_f16 v103, v29, 0xb8d2, -v103
	v_mul_f16_sdwa v43, v12, v43 dst_sel:DWORD dst_unused:UNUSED_PAD src0_sel:WORD_1 src1_sel:DWORD
	v_fma_f16 v90, v27, 0x3b76, -v90
	v_add_f16_e32 v129, v160, v158
	v_fma_f16 v158, v30, 0x2de8, -v162
	v_add_f16_e32 v106, v106, v114
	v_mul_f16_sdwa v47, v10, v47 dst_sel:DWORD dst_unused:UNUSED_PAD src0_sel:WORD_1 src1_sel:DWORD
	v_fma_f16 v80, v25, 0xbbdd, -v80
	v_mul_f16_sdwa v45, v8, v45 dst_sel:DWORD dst_unused:UNUSED_PAD src0_sel:WORD_1 src1_sel:DWORD
	v_add_f16_e32 v114, v158, v129
	v_fma_f16 v129, v26, 0xb461, -v52
	v_add_f16_e32 v103, v103, v106
	v_fmac_f16_e32 v71, 0xbacd, v37
	v_fma_f16 v70, v23, 0x39e9, -v70
	v_fmac_f16_e32 v63, 0x3722, v36
	v_add_f16_e32 v106, v129, v114
	v_fma_f16 v114, v22, 0xb8d2, -v43
	v_add_f16_e32 v90, v90, v103
	v_add_f16_e32 v71, v7, v71
	v_fma_f16 v65, v21, 0xb461, -v65
	v_fmac_f16_e32 v60, 0x2de8, v34
	v_add_f16_e32 v103, v114, v106
	v_fma_f16 v106, v18, 0xbacd, -v47
	v_add_f16_e32 v80, v80, v90
	v_add_f16_e32 v63, v63, v71
	v_fmac_f16_e32 v91, 0xb8d2, v37
	v_fma_f16 v69, v33, 0xb461, -v69
	v_add_f16_e32 v90, v106, v103
	v_fma_f16 v103, v14, 0xbbdd, -v45
	v_add_f16_e32 v70, v70, v80
	v_add_f16_e32 v60, v60, v63
	v_fmac_f16_e32 v59, 0xb8d2, v30
	v_add_f16_e32 v63, v7, v91
	v_add_f16_e32 v80, v103, v90
	v_fma_f16 v90, v35, 0xb8d2, -v105
	v_add_f16_e32 v65, v65, v70
	v_fmac_f16_e32 v92, 0xb461, v36
	v_fma_f16 v67, v31, 0x3b76, -v67
	v_add_f16_e32 v59, v59, v60
	v_add_f16_sdwa v70, v7, v90 dst_sel:DWORD dst_unused:UNUSED_PAD src0_sel:WORD_1 src1_sel:DWORD
	v_fmac_f16_e32 v61, 0x3b76, v26
	v_add_f16_e32 v60, v92, v63
	v_fmac_f16_e32 v93, 0x3b76, v34
	v_fmac_f16_e32 v58, 0xbbdd, v22
	v_add_f16_e32 v69, v69, v70
	v_add_f16_e32 v59, v61, v59
	v_fmac_f16_e32 v94, 0xbacd, v30
	v_add_f16_e32 v60, v93, v60
	v_fmac_f16_e32 v62, 0x39e9, v18
	v_add_f16_e32 v63, v67, v69
	v_fma_f16 v67, v29, 0xbacd, -v68
	v_add_f16_e32 v58, v58, v59
	v_add_f16_e32 v59, v94, v60
	v_fmac_f16_e32 v64, 0xb461, v14
	v_fmac_f16_e32 v77, 0xb461, v37
	v_add_f16_e32 v61, v67, v63
	v_fma_f16 v63, v27, 0x2de8, -v73
	v_add_f16_e32 v58, v62, v58
	v_fma_f16 v62, v35, 0xb461, -v96
	v_fmac_f16_e32 v79, 0xbacd, v36
	v_fmac_f16_e32 v81, 0x39e9, v34
	v_add_f16_e32 v60, v63, v61
	v_fma_f16 v61, v25, 0x39e9, -v74
	v_add_f16_sdwa v62, v7, v62 dst_sel:DWORD dst_unused:UNUSED_PAD src0_sel:WORD_1 src1_sel:DWORD
	v_fma_f16 v63, v33, 0xbacd, -v98
	v_add_f16_e32 v58, v64, v58
	v_add_f16_e32 v64, v7, v77
	;; [unrolled: 1-line block ×3, first 2 shown]
	v_fma_f16 v61, v23, 0xbbdd, -v75
	v_fma_f16 v57, v27, 0xbbdd, -v57
	v_fmac_f16_e32 v83, 0x3722, v30
	v_add_f16_e32 v64, v79, v64
	v_fma_f16 v55, v25, 0x2de8, -v55
	v_add_f16_e32 v60, v61, v60
	v_fma_f16 v61, v21, 0x3722, -v76
	v_fmac_f16_e32 v87, 0xbbdd, v26
	v_add_f16_e32 v64, v81, v64
	v_fmac_f16_e32 v100, 0x2de8, v22
	v_fmac_f16_e32 v89, 0x3b76, v18
	v_add_f16_e32 v60, v61, v60
	v_add_f16_e32 v61, v63, v62
	v_fma_f16 v62, v31, 0x39e9, -v78
	v_fma_f16 v63, v35, 0x2de8, -v115
	v_fmac_f16_e32 v113, 0x2de8, v37
	v_fmac_f16_e32 v56, 0xbbdd, v36
	;; [unrolled: 1-line block ×3, first 2 shown]
	v_add_f16_e32 v61, v62, v61
	v_fma_f16 v62, v29, 0x3722, -v66
	v_add_f16_sdwa v63, v7, v63 dst_sel:DWORD dst_unused:UNUSED_PAD src0_sel:WORD_1 src1_sel:DWORD
	v_fma_f16 v66, v33, 0xbbdd, -v118
	v_fmac_f16_e32 v132, 0xb8d2, v36
	v_fmac_f16_e32 v84, 0xb461, v34
	v_add_f16_e32 v61, v62, v61
	v_fmac_f16_e32 v133, 0xbbdd, v34
	v_add_f16_e32 v62, v66, v63
	v_fma_f16 v63, v31, 0xb461, -v119
	v_fmac_f16_e32 v85, 0x3b76, v30
	v_add_f16_e32 v57, v57, v61
	v_fmac_f16_e32 v134, 0xb461, v30
	v_fmac_f16_e32 v86, 0x3722, v26
	v_add_f16_e32 v61, v63, v62
	v_fma_f16 v62, v29, 0x3b76, -v121
	v_add_f16_e32 v63, v83, v64
	v_add_f16_e32 v55, v55, v57
	v_fma_f16 v57, v23, 0x3b76, -v72
	v_fma_f16 v64, v33, 0xb8d2, -v110
	v_add_f16_e32 v61, v62, v61
	v_fma_f16 v62, v27, 0x3722, -v125
	v_add_f16_e32 v63, v87, v63
	v_add_f16_e32 v55, v57, v55
	v_fma_f16 v57, v21, 0xb8d2, -v82
	v_fmac_f16_e32 v135, 0x39e9, v26
	v_add_f16_e32 v61, v62, v61
	v_fma_f16 v62, v25, 0xbacd, -v126
	v_add_f16_e32 v63, v100, v63
	v_add_f16_e32 v55, v57, v55
	v_fmac_f16_e32 v97, 0xbacd, v22
	v_fmac_f16_e32 v139, 0x3b76, v22
	v_add_f16_e32 v57, v62, v61
	v_fma_f16 v61, v23, 0xb8d2, -v124
	v_add_f16_e32 v62, v89, v63
	v_add_f16_e32 v63, v7, v113
	v_fmac_f16_e32 v54, 0xb8d2, v18
	;; [unrolled: 6-line block ×3, first 2 shown]
	v_fma_f16 v33, v33, 0x2de8, -v116
	v_add_f16_e32 v57, v61, v57
	v_fma_f16 v61, v35, 0x3722, -v109
	v_add_f16_e32 v63, v132, v63
	v_add_f16_e32 v56, v84, v56
	v_fma_f16 v35, v35, 0x39e9, -v130
	v_fmac_f16_e32 v140, 0xbacd, v14
	v_add_f16_sdwa v61, v7, v61 dst_sel:DWORD dst_unused:UNUSED_PAD src0_sel:WORD_1 src1_sel:DWORD
	v_add_f16_e32 v63, v133, v63
	v_add_f16_e32 v56, v85, v56
	v_add_f16_sdwa v35, v7, v35 dst_sel:DWORD dst_unused:UNUSED_PAD src0_sel:WORD_1 src1_sel:DWORD
	v_add_f16_e32 v66, v7, v163
	v_add_f16_e32 v61, v64, v61
	v_fma_f16 v64, v31, 0xbbdd, -v111
	v_add_f16_e32 v63, v134, v63
	v_add_f16_e32 v56, v86, v56
	v_fmac_f16_e32 v53, 0x39e9, v36
	v_add_f16_e32 v33, v33, v35
	v_add_f16_e32 v61, v64, v61
	v_fma_f16 v64, v29, 0xb461, -v112
	v_add_f16_e32 v63, v135, v63
	v_add_f16_e32 v56, v97, v56
	v_fma_f16 v31, v31, 0xb8d2, -v117
	;; [unrolled: 3-line block ×3, first 2 shown]
	v_add_f16_e32 v63, v139, v63
	v_add_f16_e32 v54, v54, v56
	v_fmac_f16_e32 v44, 0x3722, v34
	v_add_f16_e32 v31, v31, v33
	v_add_f16_e32 v56, v64, v61
	;; [unrolled: 1-line block ×3, first 2 shown]
	v_add_f16_sdwa v64, v7, v141 dst_sel:DWORD dst_unused:UNUSED_PAD src0_sel:WORD_1 src1_sel:DWORD
	v_fma_f16 v29, v29, 0xbbdd, -v128
	v_pk_add_f16 v33, v7, v136 op_sel:[1,0] op_sel_hi:[0,1]
	v_add_f16_e32 v44, v44, v53
	v_add_f16_e32 v35, v140, v63
	;; [unrolled: 1-line block ×3, first 2 shown]
	v_fmac_f16_e32 v162, 0x2de8, v30
	v_add_f16_e32 v29, v29, v31
	v_fma_f16 v27, v27, 0xbacd, -v143
	v_pk_add_f16 v31, v138, v33
	v_add_f16_e32 v63, v148, v63
	v_add_f16_e32 v44, v162, v44
	v_fmac_f16_e32 v52, 0xb461, v26
	v_fma_f16 v61, v25, 0x3b76, -v123
	v_add_f16_e32 v27, v27, v29
	v_add_f16_e32 v33, v150, v63
	v_fma_f16 v25, v25, 0xb461, -v149
	v_pk_add_f16 v29, v142, v31
	v_fmac_f16_e32 v43, 0xb8d2, v22
	v_mul_f16_e32 v155, 0x35c8, v8
	v_add_f16_e32 v31, v152, v33
	v_add_f16_e32 v33, v52, v44
	;; [unrolled: 1-line block ×3, first 2 shown]
	v_fma_f16 v61, v23, 0x2de8, -v120
	v_add_f16_e32 v25, v25, v27
	v_fma_f16 v23, v23, 0x3722, -v151
	v_pk_add_f16 v27, v144, v29
	v_add_f16_e32 v29, v153, v31
	v_add_f16_e32 v31, v43, v33
	v_fmac_f16_e32 v47, 0xbacd, v18
	v_fmamk_f16 v164, v21, 0x3b76, v155
	v_add_f16_e32 v23, v23, v25
	v_fma_f16 v21, v21, 0x3b76, -v155
	v_pk_add_f16 v25, v147, v27
	v_add_f16_e32 v27, v154, v29
	v_add_f16_e32 v29, v47, v31
	v_fmac_f16_e32 v45, 0xbbdd, v14
	v_pk_mul_f16 v31, 0xbbdd, v37 op_sel_hi:[0,1]
	v_add_f16_e32 v21, v21, v23
	v_pk_add_f16 v23, v146, v25
	v_add_f16_e32 v25, v156, v27
	v_add_f16_e32 v27, v45, v29
	v_pk_fma_f16 v29, 0xb1e1, v32, v31 op_sel:[0,0,1] op_sel_hi:[0,1,0] neg_lo:[0,1,0] neg_hi:[0,1,0]
	v_pk_mul_f16 v33, 0x3b76, v36 op_sel_hi:[0,1]
	v_pk_fma_f16 v31, 0xb1e1, v32, v31 op_sel:[0,0,1] op_sel_hi:[0,1,0]
	v_pk_mul_f16 v34, 0xbacd, v34 op_sel_hi:[0,1]
	v_add_nc_u32_e32 v161, 17, v3
	v_pk_add_f16 v29, v7, v29 op_sel:[1,0] op_sel_hi:[0,1]
	v_pk_fma_f16 v37, 0x35c8, v28, v33 op_sel:[0,0,1] op_sel_hi:[0,1,0] neg_lo:[0,1,0] neg_hi:[0,1,0]
	v_pk_add_f16 v7, v7, v31 op_sel:[1,0] op_sel_hi:[0,1]
	v_pk_fma_f16 v28, 0x35c8, v28, v33 op_sel:[0,0,1] op_sel_hi:[0,1,0]
	v_pk_fma_f16 v31, 0xb836, v24, v34 op_sel:[0,0,1] op_sel_hi:[0,1,0] neg_lo:[0,1,0] neg_hi:[0,1,0]
	v_pk_mul_f16 v30, 0x39e9, v30 op_sel_hi:[0,1]
	v_pk_add_f16 v29, v37, v29
	v_pk_fma_f16 v24, 0xb836, v24, v34 op_sel:[0,0,1] op_sel_hi:[0,1,0]
	v_pk_add_f16 v7, v28, v7
	v_mul_u32_u24_e32 v42, 0x44, v161
	v_fmac_f16_e32 v95, 0x2de8, v26
	v_pk_add_f16 v29, v31, v29
	v_pk_fma_f16 v31, 0x3964, v20, v30 op_sel:[0,0,1] op_sel_hi:[0,1,0] neg_lo:[0,1,0] neg_hi:[0,1,0]
	v_pk_mul_f16 v26, 0xb8d2, v26 op_sel_hi:[0,1]
	v_pk_add_f16 v7, v24, v7
	v_pk_fma_f16 v20, 0x3964, v20, v30 op_sel:[0,0,1] op_sel_hi:[0,1,0]
	v_add3_u32 v42, 0, v42, v40
	v_fmac_f16_e32 v99, 0x39e9, v22
	v_pack_b32_f16 v28, v48, v51
	v_pack_b32_f16 v24, v49, v50
	v_pk_add_f16 v29, v31, v29
	v_pk_fma_f16 v30, 0xba62, v16, v26 op_sel:[0,0,1] op_sel_hi:[0,1,0] neg_lo:[0,1,0] neg_hi:[0,1,0]
	v_pk_mul_f16 v22, 0x3722, v22 op_sel_hi:[0,1]
	v_pk_add_f16 v7, v20, v7
	v_pk_fma_f16 v16, 0xba62, v16, v26 op_sel:[0,0,1] op_sel_hi:[0,1,0]
	v_mul_f16_e32 v158, 0xb836, v8
	v_fmac_f16_e32 v101, 0xbbdd, v18
	ds_write2_b32 v42, v24, v28 offset0:3 offset1:4
	v_pk_add_f16 v20, v30, v29
	v_pk_fma_f16 v24, 0x3b29, v12, v22 op_sel:[0,0,1] op_sel_hi:[0,1,0] neg_lo:[0,1,0] neg_hi:[0,1,0]
	v_pk_mul_f16 v18, 0xb461, v18 op_sel_hi:[0,1]
	v_pk_add_f16 v7, v16, v7
	v_pk_fma_f16 v12, 0x3b29, v12, v22 op_sel:[0,0,1] op_sel_hi:[0,1,0]
	v_add_f16_e32 v59, v95, v59
	v_pk_mul_f16 v129, 0x35c8b1e1, v8
	v_fmac_f16_e32 v88, 0x3722, v14
	v_fmac_f16_e32 v102, 0xb8d2, v14
	;; [unrolled: 1-line block ×3, first 2 shown]
	v_pack_b32_f16 v15, v17, v15
	v_pk_add_f16 v16, v24, v20
	v_pk_fma_f16 v17, 0xbbb2, v10, v18 op_sel:[0,0,1] op_sel_hi:[0,1,0] neg_lo:[0,1,0] neg_hi:[0,1,0]
	v_pk_mul_f16 v14, 0x2de8, v14 op_sel_hi:[0,1]
	v_pk_add_f16 v7, v12, v7
	v_pk_fma_f16 v10, 0xbbb2, v10, v18 op_sel:[0,0,1] op_sel_hi:[0,1,0]
	v_bfi_b32 v18, 0xffff, v158, v23
	v_add_f16_e32 v59, v99, v59
	v_pack_b32_f16 v12, v38, v19
	v_pk_add_f16 v16, v17, v16
	v_pk_fma_f16 v17, 0x3bf7, v8, v14 op_sel:[0,0,1] op_sel_hi:[0,1,0] neg_lo:[0,1,0] neg_hi:[0,1,0]
	v_pk_add_f16 v7, v10, v7
	v_pk_fma_f16 v8, 0x3bf7, v8, v14 op_sel:[0,0,1] op_sel_hi:[0,1,0]
	v_pk_add_f16 v10, v46, v18 neg_lo:[0,1] neg_hi:[0,1]
	v_pk_add_f16 v14, v107, v23
	v_pack_b32_f16 v18, v61, v108
	v_bfi_b32 v19, 0xffff, v56, v129
	v_add_f16_e32 v159, v164, v159
	v_add_f16_e32 v59, v101, v59
	v_pk_add_f16 v7, v8, v7
	v_bfi_b32 v8, 0xffff, v10, v14
	v_pk_add_f16 v10, v18, v19
	v_alignbit_b32 v36, v159, v157, 16
	v_pack_b32_f16 v32, v80, v157
	v_pack_b32_f16 v11, v13, v11
	v_pk_add_f16 v13, v17, v16
	v_add_f16_e32 v59, v88, v59
	v_add_f16_e32 v62, v102, v62
	;; [unrolled: 1-line block ×3, first 2 shown]
	v_pk_add_f16 v8, v8, v10
	ds_write2_b32 v42, v32, v36 offset0:1 offset1:2
	ds_write2_b32 v42, v12, v15 offset0:5 offset1:6
	ds_write2_b32 v42, v9, v11 offset1:7
	v_alignbit_b32 v9, v13, v7, 16
	v_alignbit_b32 v7, v7, v13, 16
	v_pack_b32_f16 v10, v59, v60
	v_pack_b32_f16 v11, v58, v65
	;; [unrolled: 1-line block ×4, first 2 shown]
	v_alignbit_b32 v14, v21, v8, 16
	v_pack_b32_f16 v8, v35, v8
	v_pack_b32_f16 v15, v27, v25
	ds_write2_b32 v42, v7, v9 offset0:8 offset1:9
	ds_write2_b32 v42, v11, v10 offset0:10 offset1:11
	;; [unrolled: 1-line block ×4, first 2 shown]
	ds_write_b32 v42, v15 offset:64
.LBB0_20:
	s_or_b32 exec_lo, exec_lo, s1
	v_lshlrev_b32_e32 v7, 1, v3
	v_mov_b32_e32 v8, 0
	s_waitcnt lgkmcnt(0)
	s_barrier
	buffer_gl0_inv
	v_add_nc_u16 v11, v3, 0x44
	v_lshlrev_b64 v[9:10], 2, v[7:8]
	v_add_nc_u16 v7, v3, 34
	v_add_nc_u16 v13, v3, 0x55
	;; [unrolled: 1-line block ×3, first 2 shown]
	v_and_b32_e32 v19, 0xff, v11
	v_add_nc_u16 v15, v3, 0x77
	v_add_co_u32 v9, s0, s12, v9
	v_add_co_ci_u32_e64 v10, s0, s13, v10, s0
	v_and_b32_e32 v12, 0xff, v7
	v_and_b32_e32 v20, 0xff, v13
	v_mul_lo_u16 v19, 0xf1, v19
	global_load_dwordx2 v[17:18], v[9:10], off
	v_add_nc_u16 v10, v3, 51
	v_mul_lo_u16 v12, 0xf1, v12
	v_mul_lo_u16 v20, 0xf1, v20
	v_lshrrev_b16 v19, 12, v19
	v_and_b32_e32 v21, 0xff, v14
	v_and_b32_e32 v16, 0xff, v10
	v_lshrrev_b16 v12, 12, v12
	v_and_b32_e32 v22, 0xff, v15
	v_mul_lo_u16 v19, v19, 17
	v_mov_b32_e32 v9, 3
	v_mul_lo_u16 v16, 0xf1, v16
	v_mul_lo_u16 v12, v12, 17
	;; [unrolled: 1-line block ×3, first 2 shown]
	v_sub_nc_u16 v50, v11, v19
	v_mul_lo_u16 v22, 0xf1, v22
	v_lshrrev_b16 v16, 12, v16
	v_sub_nc_u16 v48, v7, v12
	v_lshrrev_b16 v7, 12, v20
	v_lshrrev_b16 v12, 12, v21
	v_mov_b32_e32 v57, 2
	v_mul_lo_u16 v16, v16, 17
	v_mul_u32_u24_e32 v55, 7, v3
	v_mul_lo_u16 v7, v7, 17
	v_sub_nc_u16 v49, v10, v16
	v_lshlrev_b32_sdwa v10, v9, v48 dst_sel:DWORD dst_unused:UNUSED_PAD src0_sel:DWORD src1_sel:BYTE_0
	v_sub_nc_u16 v51, v13, v7
	v_lshlrev_b32_sdwa v7, v9, v50 dst_sel:DWORD dst_unused:UNUSED_PAD src0_sel:DWORD src1_sel:BYTE_0
	v_lshrrev_b16 v16, 12, v22
	v_lshlrev_b32_sdwa v11, v9, v49 dst_sel:DWORD dst_unused:UNUSED_PAD src0_sel:DWORD src1_sel:BYTE_0
	global_load_dwordx2 v[19:20], v10, s[12:13]
	v_lshlrev_b32_sdwa v48, v57, v48 dst_sel:DWORD dst_unused:UNUSED_PAD src0_sel:DWORD src1_sel:BYTE_0
	v_lshlrev_b32_sdwa v49, v57, v49 dst_sel:DWORD dst_unused:UNUSED_PAD src0_sel:DWORD src1_sel:BYTE_0
	;; [unrolled: 1-line block ×3, first 2 shown]
	s_clause 0x1
	global_load_dwordx2 v[21:22], v11, s[12:13]
	global_load_dwordx2 v[23:24], v7, s[12:13]
	v_mul_lo_u16 v10, v12, 17
	v_mul_lo_u16 v11, v16, 17
	v_lshlrev_b32_e32 v55, 2, v55
	v_add3_u32 v48, 0, v48, v40
	v_add3_u32 v49, 0, v49, v40
	v_sub_nc_u16 v52, v14, v10
	v_sub_nc_u16 v53, v15, v11
	v_lshlrev_b32_sdwa v10, v9, v51 dst_sel:DWORD dst_unused:UNUSED_PAD src0_sel:DWORD src1_sel:BYTE_0
	v_lshlrev_b32_sdwa v51, v57, v51 dst_sel:DWORD dst_unused:UNUSED_PAD src0_sel:DWORD src1_sel:BYTE_0
	;; [unrolled: 1-line block ×4, first 2 shown]
	s_clause 0x2
	global_load_dwordx2 v[25:26], v10, s[12:13]
	global_load_dwordx2 v[27:28], v7, s[12:13]
	;; [unrolled: 1-line block ×3, first 2 shown]
	v_add_nc_u32_e32 v7, 0x200, v4
	ds_read_b32 v54, v39
	ds_read2_b32 v[9:10], v4 offset0:119 offset1:136
	ds_read2_b32 v[15:16], v4 offset0:17 offset1:34
	;; [unrolled: 1-line block ×10, first 2 shown]
	ds_read_b32 v56, v4 offset:1564
	v_lshlrev_b32_sdwa v52, v57, v52 dst_sel:DWORD dst_unused:UNUSED_PAD src0_sel:DWORD src1_sel:BYTE_0
	ds_read2_b32 v[46:47], v7 offset0:127 offset1:144
	v_lshlrev_b32_sdwa v53, v57, v53 dst_sel:DWORD dst_unused:UNUSED_PAD src0_sel:DWORD src1_sel:BYTE_0
	s_waitcnt vmcnt(0) lgkmcnt(0)
	s_barrier
	buffer_gl0_inv
	v_add3_u32 v51, 0, v51, v40
	v_add3_u32 v52, 0, v52, v40
	;; [unrolled: 1-line block ×4, first 2 shown]
	v_lshrrev_b32_e32 v58, 16, v54
	v_lshrrev_b32_e32 v59, 16, v10
	;; [unrolled: 1-line block ×24, first 2 shown]
	v_add_nc_u32_e32 v50, 0x200, v51
	v_add_nc_u32_e32 v57, 0x400, v52
	;; [unrolled: 1-line block ×3, first 2 shown]
	v_mul_f16_sdwa v83, v59, v17 dst_sel:DWORD dst_unused:UNUSED_PAD src0_sel:DWORD src1_sel:WORD_1
	v_mul_f16_sdwa v84, v10, v17 dst_sel:DWORD dst_unused:UNUSED_PAD src0_sel:DWORD src1_sel:WORD_1
	;; [unrolled: 1-line block ×8, first 2 shown]
	v_fma_f16 v10, v10, v17, -v83
	v_fmac_f16_e32 v84, v59, v17
	v_fma_f16 v47, v47, v18, -v85
	v_fmac_f16_e32 v86, v80, v18
	v_fma_f16 v31, v31, v17, -v87
	v_fmac_f16_e32 v88, v61, v17
	v_fma_f16 v17, v33, v18, -v89
	v_fmac_f16_e32 v90, v62, v18
	v_add_f16_e32 v33, v10, v47
	v_add_f16_e32 v61, v58, v84
	v_add_f16_e32 v62, v84, v86
	v_add_f16_e32 v80, v15, v31
	v_add_f16_e32 v83, v31, v17
	v_add_f16_e32 v87, v88, v90
	v_add_f16_e32 v18, v54, v10
	v_add_f16_e32 v85, v60, v88
	v_sub_f16_e32 v59, v84, v86
	v_sub_f16_e32 v10, v10, v47
	;; [unrolled: 1-line block ×4, first 2 shown]
	v_fmac_f16_e32 v54, -0.5, v33
	v_add_f16_e32 v33, v61, v86
	v_fmac_f16_e32 v58, -0.5, v62
	v_add_f16_e32 v17, v80, v17
	v_fma_f16 v15, -0.5, v83, v15
	v_fmac_f16_e32 v60, -0.5, v87
	v_mul_f16_sdwa v61, v64, v19 dst_sel:DWORD dst_unused:UNUSED_PAD src0_sel:DWORD src1_sel:WORD_1
	v_mul_f16_sdwa v62, v32, v19 dst_sel:DWORD dst_unused:UNUSED_PAD src0_sel:DWORD src1_sel:WORD_1
	v_mul_f16_sdwa v80, v65, v20 dst_sel:DWORD dst_unused:UNUSED_PAD src0_sel:DWORD src1_sel:WORD_1
	v_mul_f16_sdwa v83, v34, v20 dst_sel:DWORD dst_unused:UNUSED_PAD src0_sel:DWORD src1_sel:WORD_1
	v_add_f16_e32 v18, v18, v47
	v_add_f16_e32 v47, v85, v90
	v_mul_f16_sdwa v85, v67, v21 dst_sel:DWORD dst_unused:UNUSED_PAD src0_sel:DWORD src1_sel:WORD_1
	v_mul_f16_sdwa v86, v35, v21 dst_sel:DWORD dst_unused:UNUSED_PAD src0_sel:DWORD src1_sel:WORD_1
	;; [unrolled: 1-line block ×8, first 2 shown]
	v_fmamk_f16 v105, v59, 0x3aee, v54
	v_fmac_f16_e32 v54, 0xbaee, v59
	v_mul_f16_sdwa v93, v73, v25 dst_sel:DWORD dst_unused:UNUSED_PAD src0_sel:DWORD src1_sel:WORD_1
	v_mul_f16_sdwa v94, v42, v25 dst_sel:DWORD dst_unused:UNUSED_PAD src0_sel:DWORD src1_sel:WORD_1
	;; [unrolled: 1-line block ×12, first 2 shown]
	v_fmamk_f16 v59, v10, 0xbaee, v58
	v_fmac_f16_e32 v58, 0x3aee, v10
	v_fmamk_f16 v10, v84, 0x3aee, v15
	v_fmac_f16_e32 v15, 0xbaee, v84
	;; [unrolled: 2-line block ×3, first 2 shown]
	v_fma_f16 v31, v32, v19, -v61
	v_fmac_f16_e32 v62, v64, v19
	v_fma_f16 v19, v34, v20, -v80
	v_fmac_f16_e32 v83, v65, v20
	;; [unrolled: 2-line block ×12, first 2 shown]
	v_add_f16_e32 v34, v31, v19
	v_add_f16_e32 v37, v62, v83
	;; [unrolled: 1-line block ×4, first 2 shown]
	v_pack_b32_f16 v17, v17, v47
	v_pack_b32_f16 v32, v54, v58
	;; [unrolled: 1-line block ×3, first 2 shown]
	v_add_f16_e32 v47, v22, v23
	v_add_f16_e32 v58, v90, v92
	;; [unrolled: 1-line block ×8, first 2 shown]
	v_pack_b32_f16 v18, v18, v33
	v_pack_b32_f16 v30, v105, v59
	v_add_f16_e32 v33, v16, v31
	v_sub_f16_e32 v35, v62, v83
	v_add_f16_e32 v36, v63, v62
	v_sub_f16_e32 v31, v31, v19
	v_add_f16_e32 v38, v11, v20
	v_add_f16_e32 v44, v66, v86
	;; [unrolled: 1-line block ×5, first 2 shown]
	v_fmac_f16_e32 v16, -0.5, v34
	v_fmac_f16_e32 v63, -0.5, v37
	v_pack_b32_f16 v10, v10, v84
	v_sub_f16_e32 v43, v86, v88
	v_sub_f16_e32 v20, v20, v21
	v_fma_f16 v11, -0.5, v42, v11
	v_fmac_f16_e32 v66, -0.5, v45
	v_sub_f16_e32 v54, v90, v92
	v_add_f16_e32 v56, v69, v90
	v_sub_f16_e32 v22, v22, v23
	v_sub_f16_e32 v61, v94, v96
	;; [unrolled: 1-line block ×3, first 2 shown]
	v_add_f16_e32 v65, v14, v26
	v_sub_f16_e32 v68, v98, v100
	v_add_f16_e32 v70, v75, v98
	v_sub_f16_e32 v26, v26, v27
	v_add_f16_e32 v73, v9, v28
	v_sub_f16_e32 v76, v102, v104
	v_add_f16_e32 v77, v78, v102
	v_sub_f16_e32 v28, v28, v29
	v_fmac_f16_e32 v12, -0.5, v47
	v_fmac_f16_e32 v69, -0.5, v58
	v_fma_f16 v13, -0.5, v60, v13
	v_fmac_f16_e32 v72, -0.5, v64
	v_fmac_f16_e32 v14, -0.5, v67
	;; [unrolled: 1-line block ×5, first 2 shown]
	ds_write2_b32 v4, v18, v30 offset1:17
	ds_write2_b32 v4, v32, v17 offset0:34 offset1:51
	ds_write2_b32 v4, v10, v15 offset0:68 offset1:85
	v_add_f16_e32 v10, v33, v19
	v_add_f16_e32 v15, v36, v83
	;; [unrolled: 1-line block ×7, first 2 shown]
	v_fmamk_f16 v33, v35, 0x3aee, v16
	v_fmamk_f16 v34, v31, 0xbaee, v63
	v_fmac_f16_e32 v16, 0xbaee, v35
	v_fmac_f16_e32 v63, 0x3aee, v31
	v_fmamk_f16 v31, v43, 0x3aee, v11
	v_fmamk_f16 v35, v20, 0xbaee, v66
	v_fmac_f16_e32 v11, 0xbaee, v43
	v_fmac_f16_e32 v66, 0x3aee, v20
	v_add_f16_e32 v21, v56, v92
	v_add_f16_e32 v27, v65, v27
	;; [unrolled: 1-line block ×5, first 2 shown]
	v_fmamk_f16 v20, v54, 0x3aee, v12
	v_fmac_f16_e32 v12, 0xbaee, v54
	v_fmamk_f16 v36, v22, 0xbaee, v69
	v_fmac_f16_e32 v69, 0x3aee, v22
	;; [unrolled: 2-line block ×8, first 2 shown]
	v_pack_b32_f16 v10, v10, v15
	v_pack_b32_f16 v15, v17, v18
	;; [unrolled: 1-line block ×18, first 2 shown]
	ds_write2_b32 v48, v10, v23 offset0:102 offset1:119
	ds_write_b32 v48, v16 offset:544
	ds_write2_b32 v49, v15, v25 offset0:153 offset1:170
	ds_write_b32 v49, v11 offset:748
	;; [unrolled: 2-line block ×6, first 2 shown]
	s_waitcnt lgkmcnt(0)
	s_barrier
	buffer_gl0_inv
	s_clause 0x5
	global_load_dwordx4 v[9:12], v55, s[12:13] offset:136
	global_load_dwordx3 v[21:23], v55, s[12:13] offset:152
	global_load_dwordx4 v[13:16], v55, s[12:13] offset:612
	global_load_dwordx3 v[24:26], v55, s[12:13] offset:628
	;; [unrolled: 2-line block ×3, first 2 shown]
	ds_read2_b32 v[30:31], v7 offset0:127 offset1:144
	ds_read2_b32 v[32:33], v41 offset0:33 offset1:50
	;; [unrolled: 1-line block ×11, first 2 shown]
	ds_read_b32 v7, v39
	ds_read_u16 v38, v4 offset:818
	ds_read_b32 v39, v4 offset:1564
	s_waitcnt vmcnt(0) lgkmcnt(0)
	s_barrier
	buffer_gl0_inv
	v_lshrrev_b32_e32 v40, 16, v30
	v_lshrrev_b32_e32 v56, 16, v33
	;; [unrolled: 1-line block ×23, first 2 shown]
	v_mul_f16_sdwa v78, v9, v73 dst_sel:DWORD dst_unused:UNUSED_PAD src0_sel:WORD_1 src1_sel:DWORD
	v_mul_f16_sdwa v79, v9, v36 dst_sel:DWORD dst_unused:UNUSED_PAD src0_sel:WORD_1 src1_sel:DWORD
	;; [unrolled: 1-line block ×6, first 2 shown]
	v_mul_f16_sdwa v84, v38, v12 dst_sel:DWORD dst_unused:UNUSED_PAD src0_sel:DWORD src1_sel:WORD_1
	v_mul_f16_sdwa v85, v12, v55 dst_sel:DWORD dst_unused:UNUSED_PAD src0_sel:WORD_1 src1_sel:DWORD
	v_mul_f16_sdwa v86, v40, v21 dst_sel:DWORD dst_unused:UNUSED_PAD src0_sel:DWORD src1_sel:WORD_1
	v_mul_f16_sdwa v87, v30, v21 dst_sel:DWORD dst_unused:UNUSED_PAD src0_sel:DWORD src1_sel:WORD_1
	v_mul_f16_sdwa v88, v56, v22 dst_sel:DWORD dst_unused:UNUSED_PAD src0_sel:DWORD src1_sel:WORD_1
	v_mul_f16_sdwa v89, v33, v22 dst_sel:DWORD dst_unused:UNUSED_PAD src0_sel:DWORD src1_sel:WORD_1
	v_mul_f16_sdwa v90, v57, v23 dst_sel:DWORD dst_unused:UNUSED_PAD src0_sel:DWORD src1_sel:WORD_1
	v_mul_f16_sdwa v91, v34, v23 dst_sel:DWORD dst_unused:UNUSED_PAD src0_sel:DWORD src1_sel:WORD_1
	v_mul_f16_sdwa v92, v58, v13 dst_sel:DWORD dst_unused:UNUSED_PAD src0_sel:DWORD src1_sel:WORD_1
	v_mul_f16_sdwa v93, v37, v13 dst_sel:DWORD dst_unused:UNUSED_PAD src0_sel:DWORD src1_sel:WORD_1
	v_mul_f16_sdwa v94, v59, v14 dst_sel:DWORD dst_unused:UNUSED_PAD src0_sel:DWORD src1_sel:WORD_1
	v_mul_f16_sdwa v95, v42, v14 dst_sel:DWORD dst_unused:UNUSED_PAD src0_sel:DWORD src1_sel:WORD_1
	v_mul_f16_sdwa v96, v60, v15 dst_sel:DWORD dst_unused:UNUSED_PAD src0_sel:DWORD src1_sel:WORD_1
	v_mul_f16_sdwa v97, v45, v15 dst_sel:DWORD dst_unused:UNUSED_PAD src0_sel:DWORD src1_sel:WORD_1
	v_mul_f16_sdwa v98, v61, v16 dst_sel:DWORD dst_unused:UNUSED_PAD src0_sel:DWORD src1_sel:WORD_1
	v_mul_f16_sdwa v99, v46, v16 dst_sel:DWORD dst_unused:UNUSED_PAD src0_sel:DWORD src1_sel:WORD_1
	v_mul_f16_sdwa v100, v62, v24 dst_sel:DWORD dst_unused:UNUSED_PAD src0_sel:DWORD src1_sel:WORD_1
	v_mul_f16_sdwa v101, v31, v24 dst_sel:DWORD dst_unused:UNUSED_PAD src0_sel:DWORD src1_sel:WORD_1
	v_mul_f16_sdwa v102, v63, v25 dst_sel:DWORD dst_unused:UNUSED_PAD src0_sel:DWORD src1_sel:WORD_1
	v_mul_f16_sdwa v103, v48, v25 dst_sel:DWORD dst_unused:UNUSED_PAD src0_sel:DWORD src1_sel:WORD_1
	v_mul_f16_sdwa v104, v64, v26 dst_sel:DWORD dst_unused:UNUSED_PAD src0_sel:DWORD src1_sel:WORD_1
	v_mul_f16_sdwa v105, v35, v26 dst_sel:DWORD dst_unused:UNUSED_PAD src0_sel:DWORD src1_sel:WORD_1
	v_mul_f16_sdwa v106, v66, v17 dst_sel:DWORD dst_unused:UNUSED_PAD src0_sel:DWORD src1_sel:WORD_1
	v_mul_f16_sdwa v107, v52, v17 dst_sel:DWORD dst_unused:UNUSED_PAD src0_sel:DWORD src1_sel:WORD_1
	v_mul_f16_sdwa v108, v67, v18 dst_sel:DWORD dst_unused:UNUSED_PAD src0_sel:DWORD src1_sel:WORD_1
	v_mul_f16_sdwa v109, v43, v18 dst_sel:DWORD dst_unused:UNUSED_PAD src0_sel:DWORD src1_sel:WORD_1
	v_mul_f16_sdwa v110, v68, v19 dst_sel:DWORD dst_unused:UNUSED_PAD src0_sel:DWORD src1_sel:WORD_1
	v_mul_f16_sdwa v111, v54, v19 dst_sel:DWORD dst_unused:UNUSED_PAD src0_sel:DWORD src1_sel:WORD_1
	v_mul_f16_sdwa v112, v69, v20 dst_sel:DWORD dst_unused:UNUSED_PAD src0_sel:DWORD src1_sel:WORD_1
	v_mul_f16_sdwa v113, v47, v20 dst_sel:DWORD dst_unused:UNUSED_PAD src0_sel:DWORD src1_sel:WORD_1
	v_mul_f16_sdwa v114, v70, v27 dst_sel:DWORD dst_unused:UNUSED_PAD src0_sel:DWORD src1_sel:WORD_1
	v_mul_f16_sdwa v115, v32, v27 dst_sel:DWORD dst_unused:UNUSED_PAD src0_sel:DWORD src1_sel:WORD_1
	v_mul_f16_sdwa v116, v71, v28 dst_sel:DWORD dst_unused:UNUSED_PAD src0_sel:DWORD src1_sel:WORD_1
	v_mul_f16_sdwa v117, v49, v28 dst_sel:DWORD dst_unused:UNUSED_PAD src0_sel:DWORD src1_sel:WORD_1
	v_mul_f16_sdwa v118, v72, v29 dst_sel:DWORD dst_unused:UNUSED_PAD src0_sel:DWORD src1_sel:WORD_1
	v_mul_f16_sdwa v119, v39, v29 dst_sel:DWORD dst_unused:UNUSED_PAD src0_sel:DWORD src1_sel:WORD_1
	v_fma_f16 v36, v9, v36, -v78
	v_fmac_f16_e32 v79, v9, v73
	v_fma_f16 v9, v10, v53, -v80
	v_fmac_f16_e32 v81, v10, v74
	;; [unrolled: 2-line block ×21, first 2 shown]
	v_sub_f16_e32 v11, v7, v11
	v_sub_f16_e32 v29, v76, v85
	;; [unrolled: 1-line block ×24, first 2 shown]
	v_fma_f16 v7, v7, 2.0, -v11
	v_fma_f16 v43, v76, 2.0, -v29
	v_fma_f16 v9, v9, 2.0, -v21
	v_fma_f16 v44, v81, 2.0, -v30
	v_fma_f16 v36, v36, 2.0, -v12
	v_fma_f16 v45, v79, 2.0, -v31
	v_fma_f16 v10, v10, 2.0, -v22
	v_fma_f16 v46, v83, 2.0, -v32
	v_sub_f16_e32 v30, v11, v30
	v_add_f16_e32 v21, v29, v21
	v_sub_f16_e32 v32, v12, v32
	v_add_f16_e32 v22, v31, v22
	v_fma_f16 v47, v50, 2.0, -v15
	v_fma_f16 v48, v77, 2.0, -v33
	v_fma_f16 v13, v13, 2.0, -v24
	v_fma_f16 v49, v95, 2.0, -v34
	v_fma_f16 v23, v23, 2.0, -v16
	v_fma_f16 v50, v93, 2.0, -v35
	v_fma_f16 v14, v14, 2.0, -v25
	v_fma_f16 v52, v97, 2.0, -v37
	v_sub_f16_e32 v34, v15, v34
	v_add_f16_e32 v24, v33, v24
	v_sub_f16_e32 v37, v16, v37
	v_add_f16_e32 v25, v35, v25
	;; [unrolled: 12-line block ×3, first 2 shown]
	v_sub_f16_e32 v9, v7, v9
	v_sub_f16_e32 v44, v43, v44
	v_fma_f16 v11, v11, 2.0, -v30
	v_sub_f16_e32 v10, v36, v10
	v_sub_f16_e32 v46, v45, v46
	v_fma_f16 v12, v12, 2.0, -v32
	v_fmamk_f16 v57, v32, 0x39a8, v30
	v_fmamk_f16 v58, v22, 0x39a8, v21
	v_sub_f16_e32 v13, v47, v13
	v_sub_f16_e32 v49, v48, v49
	v_sub_f16_e32 v14, v23, v14
	v_sub_f16_e32 v52, v50, v52
	v_fma_f16 v29, v29, 2.0, -v21
	v_fma_f16 v31, v31, 2.0, -v22
	;; [unrolled: 1-line block ×6, first 2 shown]
	v_fmamk_f16 v59, v37, 0x39a8, v34
	v_fmamk_f16 v60, v25, 0x39a8, v24
	v_sub_f16_e32 v17, v51, v17
	v_sub_f16_e32 v54, v53, v54
	v_fma_f16 v19, v19, 2.0, -v39
	v_fma_f16 v38, v38, 2.0, -v27
	v_sub_f16_e32 v18, v26, v18
	v_sub_f16_e32 v56, v55, v56
	v_fma_f16 v20, v20, 2.0, -v42
	v_fma_f16 v40, v40, 2.0, -v28
	v_fmamk_f16 v61, v42, 0x39a8, v39
	v_fmamk_f16 v62, v28, 0x39a8, v27
	v_fma_f16 v7, v7, 2.0, -v9
	v_fma_f16 v43, v43, 2.0, -v44
	;; [unrolled: 1-line block ×4, first 2 shown]
	v_fmamk_f16 v63, v12, 0xb9a8, v11
	v_fmac_f16_e32 v57, 0xb9a8, v22
	v_fmac_f16_e32 v58, 0x39a8, v32
	v_fma_f16 v22, v47, 2.0, -v13
	v_fma_f16 v32, v48, 2.0, -v49
	;; [unrolled: 1-line block ×4, first 2 shown]
	v_fmamk_f16 v64, v31, 0xb9a8, v29
	v_sub_f16_e32 v46, v9, v46
	v_add_f16_e32 v10, v44, v10
	v_fmamk_f16 v48, v16, 0xb9a8, v15
	v_fmamk_f16 v50, v35, 0xb9a8, v33
	v_sub_f16_e32 v52, v13, v52
	v_add_f16_e32 v14, v49, v14
	v_fmac_f16_e32 v59, 0xb9a8, v25
	v_fmac_f16_e32 v60, 0x39a8, v37
	v_fma_f16 v25, v51, 2.0, -v17
	v_fma_f16 v37, v53, 2.0, -v54
	;; [unrolled: 1-line block ×4, first 2 shown]
	v_fmamk_f16 v53, v20, 0xb9a8, v19
	v_fmamk_f16 v55, v40, 0xb9a8, v38
	v_sub_f16_e32 v56, v17, v56
	v_add_f16_e32 v18, v54, v18
	v_fmac_f16_e32 v61, 0xb9a8, v28
	v_fmac_f16_e32 v62, 0x39a8, v42
	v_sub_f16_e32 v28, v7, v36
	v_sub_f16_e32 v36, v43, v45
	v_fmac_f16_e32 v63, 0xb9a8, v31
	v_sub_f16_e32 v23, v22, v23
	v_sub_f16_e32 v31, v32, v47
	v_fmac_f16_e32 v64, 0x39a8, v12
	v_fma_f16 v9, v9, 2.0, -v46
	v_fma_f16 v12, v44, 2.0, -v10
	;; [unrolled: 1-line block ×4, first 2 shown]
	v_fmac_f16_e32 v48, 0xb9a8, v35
	v_fmac_f16_e32 v50, 0x39a8, v16
	v_fma_f16 v13, v13, 2.0, -v52
	v_fma_f16 v16, v49, 2.0, -v14
	v_sub_f16_e32 v26, v25, v26
	v_sub_f16_e32 v35, v37, v51
	v_fmac_f16_e32 v53, 0xb9a8, v40
	v_fmac_f16_e32 v55, 0x39a8, v20
	v_fma_f16 v17, v17, 2.0, -v56
	v_fma_f16 v20, v54, 2.0, -v18
	v_pack_b32_f16 v10, v46, v10
	v_pack_b32_f16 v14, v52, v14
	v_fma_f16 v34, v34, 2.0, -v59
	v_fma_f16 v24, v24, 2.0, -v60
	v_fma_f16 v39, v39, 2.0, -v61
	v_fma_f16 v27, v27, 2.0, -v62
	v_pack_b32_f16 v40, v57, v58
	v_pack_b32_f16 v18, v56, v18
	v_fma_f16 v7, v7, 2.0, -v28
	v_fma_f16 v43, v43, 2.0, -v36
	;; [unrolled: 6-line block ×3, first 2 shown]
	v_fma_f16 v15, v15, 2.0, -v48
	v_fma_f16 v33, v33, 2.0, -v50
	;; [unrolled: 1-line block ×6, first 2 shown]
	v_pack_b32_f16 v9, v9, v12
	v_pack_b32_f16 v12, v30, v21
	;; [unrolled: 1-line block ×3, first 2 shown]
	ds_write2_b32 v41, v10, v14 offset0:50 offset1:67
	v_pack_b32_f16 v10, v17, v20
	v_pack_b32_f16 v21, v28, v36
	;; [unrolled: 1-line block ×9, first 2 shown]
	ds_write2_b32 v41, v18, v40 offset0:84 offset1:101
	ds_write2_b32 v41, v42, v44 offset0:118 offset1:135
	v_pack_b32_f16 v7, v7, v43
	v_pack_b32_f16 v18, v22, v32
	;; [unrolled: 1-line block ×4, first 2 shown]
	ds_write2_b32 v4, v9, v13 offset0:102 offset1:119
	ds_write2_b32 v4, v21, v23 offset0:204 offset1:221
	v_pack_b32_f16 v9, v25, v37
	v_pack_b32_f16 v13, v19, v38
	ds_write2_b32 v4, v10, v12 offset0:136 offset1:153
	ds_write2_b32 v4, v16, v14 offset0:170 offset1:187
	;; [unrolled: 1-line block ×4, first 2 shown]
	ds_write2_b32 v4, v7, v18 offset1:17
	ds_write2_b32 v4, v9, v11 offset0:34 offset1:51
	ds_write2_b32 v4, v15, v13 offset0:68 offset1:85
	s_waitcnt lgkmcnt(0)
	s_barrier
	buffer_gl0_inv
	s_and_saveexec_b32 s0, vcc_lo
	s_cbranch_execz .LBB0_22
; %bb.21:
	v_mul_lo_u32 v4, s3, v5
	v_mul_lo_u32 v7, s2, v6
	v_mad_u64_u32 v[5:6], null, s2, v5, 0
	v_lshl_add_u32 v17, v3, 2, v0
	v_lshlrev_b64 v[0:1], 2, v[1:2]
	ds_read2_b32 v[9:10], v17 offset1:17
	v_add3_u32 v6, v6, v7, v4
	v_mov_b32_e32 v4, v8
	v_add_nc_u32_e32 v7, 17, v3
	v_lshlrev_b64 v[5:6], 2, v[5:6]
	v_lshlrev_b64 v[11:12], 2, v[3:4]
	;; [unrolled: 1-line block ×3, first 2 shown]
	v_add_nc_u32_e32 v7, 34, v3
	v_add_co_u32 v2, vcc_lo, s10, v5
	v_add_co_ci_u32_e32 v6, vcc_lo, s11, v6, vcc_lo
	ds_read2_b32 v[4:5], v17 offset0:34 offset1:51
	v_add_co_u32 v21, vcc_lo, v2, v0
	v_add_co_ci_u32_e32 v22, vcc_lo, v6, v1, vcc_lo
	v_lshlrev_b64 v[0:1], 2, v[7:8]
	v_add_co_u32 v11, vcc_lo, v21, v11
	v_add_co_ci_u32_e32 v12, vcc_lo, v22, v12, vcc_lo
	v_add_co_u32 v13, vcc_lo, v21, v13
	v_add_co_ci_u32_e32 v14, vcc_lo, v22, v14, vcc_lo
	v_add_nc_u32_e32 v7, 51, v3
	v_add_co_u32 v0, vcc_lo, v21, v0
	v_add_co_ci_u32_e32 v1, vcc_lo, v22, v1, vcc_lo
	v_lshlrev_b64 v[15:16], 2, v[7:8]
	v_add_nc_u32_e32 v7, 0x44, v3
	s_waitcnt lgkmcnt(1)
	global_store_dword v[11:12], v9, off
	global_store_dword v[13:14], v10, off
	s_waitcnt lgkmcnt(0)
	global_store_dword v[0:1], v4, off
	ds_read2_b32 v[0:1], v17 offset0:68 offset1:85
	v_add_nc_u32_e32 v2, 0x400, v17
	v_lshlrev_b64 v[9:10], 2, v[7:8]
	v_add_nc_u32_e32 v7, 0x55, v3
	v_add_co_u32 v11, vcc_lo, v21, v15
	v_add_co_ci_u32_e32 v12, vcc_lo, v22, v16, vcc_lo
	v_lshlrev_b64 v[13:14], 2, v[7:8]
	v_add_co_u32 v9, vcc_lo, v21, v9
	v_add_co_ci_u32_e32 v10, vcc_lo, v22, v10, vcc_lo
	v_add_nc_u32_e32 v7, 0x66, v3
	v_add_co_u32 v13, vcc_lo, v21, v13
	v_add_co_ci_u32_e32 v14, vcc_lo, v22, v14, vcc_lo
	v_lshlrev_b64 v[15:16], 2, v[7:8]
	v_add_nc_u32_e32 v7, 0x77, v3
	global_store_dword v[11:12], v5, off
	s_waitcnt lgkmcnt(0)
	global_store_dword v[9:10], v0, off
	global_store_dword v[13:14], v1, off
	ds_read2_b32 v[0:1], v17 offset0:102 offset1:119
	ds_read2_b32 v[9:10], v17 offset0:136 offset1:153
	v_lshlrev_b64 v[4:5], 2, v[7:8]
	v_add_nc_u32_e32 v7, 0x88, v3
	v_add_co_u32 v11, vcc_lo, v21, v15
	v_add_co_ci_u32_e32 v12, vcc_lo, v22, v16, vcc_lo
	v_lshlrev_b64 v[13:14], 2, v[7:8]
	v_add_co_u32 v4, vcc_lo, v21, v4
	v_add_co_ci_u32_e32 v5, vcc_lo, v22, v5, vcc_lo
	v_add_nc_u32_e32 v7, 0x99, v3
	v_add_co_u32 v13, vcc_lo, v21, v13
	v_add_co_ci_u32_e32 v14, vcc_lo, v22, v14, vcc_lo
	v_lshlrev_b64 v[15:16], 2, v[7:8]
	v_add_nc_u32_e32 v7, 0xaa, v3
	s_waitcnt lgkmcnt(1)
	global_store_dword v[11:12], v0, off
	global_store_dword v[4:5], v1, off
	s_waitcnt lgkmcnt(0)
	global_store_dword v[13:14], v9, off
	ds_read2_b32 v[0:1], v17 offset0:170 offset1:187
	v_lshlrev_b64 v[4:5], 2, v[7:8]
	v_add_nc_u32_e32 v7, 0xbb, v3
	v_add_co_u32 v11, vcc_lo, v21, v15
	v_add_co_ci_u32_e32 v12, vcc_lo, v22, v16, vcc_lo
	v_lshlrev_b64 v[13:14], 2, v[7:8]
	v_add_co_u32 v4, vcc_lo, v21, v4
	v_add_co_ci_u32_e32 v5, vcc_lo, v22, v5, vcc_lo
	v_add_nc_u32_e32 v7, 0xcc, v3
	v_add_co_u32 v13, vcc_lo, v21, v13
	v_add_co_ci_u32_e32 v14, vcc_lo, v22, v14, vcc_lo
	v_lshlrev_b64 v[15:16], 2, v[7:8]
	v_add_nc_u32_e32 v7, 0xdd, v3
	global_store_dword v[11:12], v10, off
	s_waitcnt lgkmcnt(0)
	global_store_dword v[4:5], v0, off
	global_store_dword v[13:14], v1, off
	ds_read2_b32 v[0:1], v17 offset0:204 offset1:221
	ds_read2_b32 v[9:10], v17 offset0:238 offset1:255
	v_lshlrev_b64 v[4:5], 2, v[7:8]
	v_add_nc_u32_e32 v7, 0xee, v3
	v_add_co_u32 v11, vcc_lo, v21, v15
	v_add_co_ci_u32_e32 v12, vcc_lo, v22, v16, vcc_lo
	v_lshlrev_b64 v[13:14], 2, v[7:8]
	v_add_nc_u32_e32 v7, 0xff, v3
	v_add_co_u32 v4, vcc_lo, v21, v4
	v_add_co_ci_u32_e32 v5, vcc_lo, v22, v5, vcc_lo
	v_add_co_u32 v13, vcc_lo, v21, v13
	v_lshlrev_b64 v[15:16], 2, v[7:8]
	v_add_nc_u32_e32 v7, 0x110, v3
	v_add_co_ci_u32_e32 v14, vcc_lo, v22, v14, vcc_lo
	s_waitcnt lgkmcnt(1)
	global_store_dword v[11:12], v0, off
	global_store_dword v[4:5], v1, off
	s_waitcnt lgkmcnt(0)
	global_store_dword v[13:14], v9, off
	v_lshlrev_b64 v[0:1], 2, v[7:8]
	v_add_nc_u32_e32 v7, 0x121, v3
	v_add_co_u32 v4, vcc_lo, v21, v15
	ds_read2_b32 v[11:12], v2 offset0:16 offset1:33
	v_add_co_ci_u32_e32 v5, vcc_lo, v22, v16, vcc_lo
	ds_read2_b32 v[15:16], v2 offset0:50 offset1:67
	v_lshlrev_b64 v[13:14], 2, v[7:8]
	v_add_nc_u32_e32 v7, 0x132, v3
	v_add_co_u32 v0, vcc_lo, v21, v0
	v_add_co_ci_u32_e32 v1, vcc_lo, v22, v1, vcc_lo
	v_lshlrev_b64 v[17:18], 2, v[7:8]
	v_add_nc_u32_e32 v7, 0x143, v3
	v_add_co_u32 v13, vcc_lo, v21, v13
	v_add_co_ci_u32_e32 v14, vcc_lo, v22, v14, vcc_lo
	;; [unrolled: 4-line block ×3, first 2 shown]
	global_store_dword v[4:5], v10, off
	s_waitcnt lgkmcnt(1)
	global_store_dword v[0:1], v11, off
	global_store_dword v[13:14], v12, off
	s_waitcnt lgkmcnt(0)
	global_store_dword v[17:18], v15, off
	v_lshlrev_b64 v[0:1], 2, v[7:8]
	v_add_nc_u32_e32 v7, 0x165, v3
	ds_read2_b32 v[9:10], v2 offset0:84 offset1:101
	ds_read2_b32 v[13:14], v2 offset0:118 offset1:135
	v_add_co_u32 v4, vcc_lo, v21, v19
	v_lshlrev_b64 v[11:12], 2, v[7:8]
	v_add_nc_u32_e32 v7, 0x176, v3
	v_add_co_ci_u32_e32 v5, vcc_lo, v22, v20, vcc_lo
	v_add_co_u32 v0, vcc_lo, v21, v0
	v_lshlrev_b64 v[17:18], 2, v[7:8]
	v_add_nc_u32_e32 v7, 0x187, v3
	v_add_co_ci_u32_e32 v1, vcc_lo, v22, v1, vcc_lo
	v_add_co_u32 v2, vcc_lo, v21, v11
	v_lshlrev_b64 v[6:7], 2, v[7:8]
	v_add_co_ci_u32_e32 v3, vcc_lo, v22, v12, vcc_lo
	v_add_co_u32 v11, vcc_lo, v21, v17
	v_add_co_ci_u32_e32 v12, vcc_lo, v22, v18, vcc_lo
	v_add_co_u32 v6, vcc_lo, v21, v6
	v_add_co_ci_u32_e32 v7, vcc_lo, v22, v7, vcc_lo
	global_store_dword v[4:5], v16, off
	s_waitcnt lgkmcnt(1)
	global_store_dword v[0:1], v9, off
	global_store_dword v[2:3], v10, off
	s_waitcnt lgkmcnt(0)
	global_store_dword v[11:12], v13, off
	global_store_dword v[6:7], v14, off
.LBB0_22:
	s_endpgm
	.section	.rodata,"a",@progbits
	.p2align	6, 0x0
	.amdhsa_kernel fft_rtc_fwd_len408_factors_17_3_8_wgs_51_tpt_17_halfLds_half_op_CI_CI_unitstride_sbrr_C2R_dirReg
		.amdhsa_group_segment_fixed_size 0
		.amdhsa_private_segment_fixed_size 0
		.amdhsa_kernarg_size 104
		.amdhsa_user_sgpr_count 6
		.amdhsa_user_sgpr_private_segment_buffer 1
		.amdhsa_user_sgpr_dispatch_ptr 0
		.amdhsa_user_sgpr_queue_ptr 0
		.amdhsa_user_sgpr_kernarg_segment_ptr 1
		.amdhsa_user_sgpr_dispatch_id 0
		.amdhsa_user_sgpr_flat_scratch_init 0
		.amdhsa_user_sgpr_private_segment_size 0
		.amdhsa_wavefront_size32 1
		.amdhsa_uses_dynamic_stack 0
		.amdhsa_system_sgpr_private_segment_wavefront_offset 0
		.amdhsa_system_sgpr_workgroup_id_x 1
		.amdhsa_system_sgpr_workgroup_id_y 0
		.amdhsa_system_sgpr_workgroup_id_z 0
		.amdhsa_system_sgpr_workgroup_info 0
		.amdhsa_system_vgpr_workitem_id 0
		.amdhsa_next_free_vgpr 190
		.amdhsa_next_free_sgpr 27
		.amdhsa_reserve_vcc 1
		.amdhsa_reserve_flat_scratch 0
		.amdhsa_float_round_mode_32 0
		.amdhsa_float_round_mode_16_64 0
		.amdhsa_float_denorm_mode_32 3
		.amdhsa_float_denorm_mode_16_64 3
		.amdhsa_dx10_clamp 1
		.amdhsa_ieee_mode 1
		.amdhsa_fp16_overflow 0
		.amdhsa_workgroup_processor_mode 1
		.amdhsa_memory_ordered 1
		.amdhsa_forward_progress 0
		.amdhsa_shared_vgpr_count 0
		.amdhsa_exception_fp_ieee_invalid_op 0
		.amdhsa_exception_fp_denorm_src 0
		.amdhsa_exception_fp_ieee_div_zero 0
		.amdhsa_exception_fp_ieee_overflow 0
		.amdhsa_exception_fp_ieee_underflow 0
		.amdhsa_exception_fp_ieee_inexact 0
		.amdhsa_exception_int_div_zero 0
	.end_amdhsa_kernel
	.text
.Lfunc_end0:
	.size	fft_rtc_fwd_len408_factors_17_3_8_wgs_51_tpt_17_halfLds_half_op_CI_CI_unitstride_sbrr_C2R_dirReg, .Lfunc_end0-fft_rtc_fwd_len408_factors_17_3_8_wgs_51_tpt_17_halfLds_half_op_CI_CI_unitstride_sbrr_C2R_dirReg
                                        ; -- End function
	.section	.AMDGPU.csdata,"",@progbits
; Kernel info:
; codeLenInByte = 19620
; NumSgprs: 29
; NumVgprs: 190
; ScratchSize: 0
; MemoryBound: 0
; FloatMode: 240
; IeeeMode: 1
; LDSByteSize: 0 bytes/workgroup (compile time only)
; SGPRBlocks: 3
; VGPRBlocks: 23
; NumSGPRsForWavesPerEU: 29
; NumVGPRsForWavesPerEU: 190
; Occupancy: 5
; WaveLimiterHint : 1
; COMPUTE_PGM_RSRC2:SCRATCH_EN: 0
; COMPUTE_PGM_RSRC2:USER_SGPR: 6
; COMPUTE_PGM_RSRC2:TRAP_HANDLER: 0
; COMPUTE_PGM_RSRC2:TGID_X_EN: 1
; COMPUTE_PGM_RSRC2:TGID_Y_EN: 0
; COMPUTE_PGM_RSRC2:TGID_Z_EN: 0
; COMPUTE_PGM_RSRC2:TIDIG_COMP_CNT: 0
	.text
	.p2alignl 6, 3214868480
	.fill 48, 4, 3214868480
	.type	__hip_cuid_250b6578ade40108,@object ; @__hip_cuid_250b6578ade40108
	.section	.bss,"aw",@nobits
	.globl	__hip_cuid_250b6578ade40108
__hip_cuid_250b6578ade40108:
	.byte	0                               ; 0x0
	.size	__hip_cuid_250b6578ade40108, 1

	.ident	"AMD clang version 19.0.0git (https://github.com/RadeonOpenCompute/llvm-project roc-6.4.0 25133 c7fe45cf4b819c5991fe208aaa96edf142730f1d)"
	.section	".note.GNU-stack","",@progbits
	.addrsig
	.addrsig_sym __hip_cuid_250b6578ade40108
	.amdgpu_metadata
---
amdhsa.kernels:
  - .args:
      - .actual_access:  read_only
        .address_space:  global
        .offset:         0
        .size:           8
        .value_kind:     global_buffer
      - .offset:         8
        .size:           8
        .value_kind:     by_value
      - .actual_access:  read_only
        .address_space:  global
        .offset:         16
        .size:           8
        .value_kind:     global_buffer
      - .actual_access:  read_only
        .address_space:  global
        .offset:         24
        .size:           8
        .value_kind:     global_buffer
      - .actual_access:  read_only
        .address_space:  global
        .offset:         32
        .size:           8
        .value_kind:     global_buffer
      - .offset:         40
        .size:           8
        .value_kind:     by_value
      - .actual_access:  read_only
        .address_space:  global
        .offset:         48
        .size:           8
        .value_kind:     global_buffer
      - .actual_access:  read_only
        .address_space:  global
        .offset:         56
        .size:           8
        .value_kind:     global_buffer
      - .offset:         64
        .size:           4
        .value_kind:     by_value
      - .actual_access:  read_only
        .address_space:  global
        .offset:         72
        .size:           8
        .value_kind:     global_buffer
      - .actual_access:  read_only
        .address_space:  global
        .offset:         80
        .size:           8
        .value_kind:     global_buffer
      - .actual_access:  read_only
        .address_space:  global
        .offset:         88
        .size:           8
        .value_kind:     global_buffer
      - .actual_access:  write_only
        .address_space:  global
        .offset:         96
        .size:           8
        .value_kind:     global_buffer
    .group_segment_fixed_size: 0
    .kernarg_segment_align: 8
    .kernarg_segment_size: 104
    .language:       OpenCL C
    .language_version:
      - 2
      - 0
    .max_flat_workgroup_size: 51
    .name:           fft_rtc_fwd_len408_factors_17_3_8_wgs_51_tpt_17_halfLds_half_op_CI_CI_unitstride_sbrr_C2R_dirReg
    .private_segment_fixed_size: 0
    .sgpr_count:     29
    .sgpr_spill_count: 0
    .symbol:         fft_rtc_fwd_len408_factors_17_3_8_wgs_51_tpt_17_halfLds_half_op_CI_CI_unitstride_sbrr_C2R_dirReg.kd
    .uniform_work_group_size: 1
    .uses_dynamic_stack: false
    .vgpr_count:     190
    .vgpr_spill_count: 0
    .wavefront_size: 32
    .workgroup_processor_mode: 1
amdhsa.target:   amdgcn-amd-amdhsa--gfx1030
amdhsa.version:
  - 1
  - 2
...

	.end_amdgpu_metadata
